;; amdgpu-corpus repo=ROCm/rocFFT kind=compiled arch=gfx950 opt=O3
	.text
	.amdgcn_target "amdgcn-amd-amdhsa--gfx950"
	.amdhsa_code_object_version 6
	.protected	bluestein_single_back_len1485_dim1_sp_op_CI_CI ; -- Begin function bluestein_single_back_len1485_dim1_sp_op_CI_CI
	.globl	bluestein_single_back_len1485_dim1_sp_op_CI_CI
	.p2align	8
	.type	bluestein_single_back_len1485_dim1_sp_op_CI_CI,@function
bluestein_single_back_len1485_dim1_sp_op_CI_CI: ; @bluestein_single_back_len1485_dim1_sp_op_CI_CI
; %bb.0:
	s_load_dwordx4 s[12:15], s[0:1], 0x28
	v_mul_u32_u24_e32 v1, 0x18e, v0
	v_mov_b32_e32 v63, 0
	v_add_u32_sdwa v72, s2, v1 dst_sel:DWORD dst_unused:UNUSED_PAD src0_sel:DWORD src1_sel:WORD_1
	v_mov_b32_e32 v73, v63
	s_waitcnt lgkmcnt(0)
	v_cmp_gt_u64_e32 vcc, s[12:13], v[72:73]
	s_and_saveexec_b64 s[2:3], vcc
	s_cbranch_execz .LBB0_18
; %bb.1:
	s_load_dwordx4 s[8:11], s[0:1], 0x18
	s_load_dwordx4 s[4:7], s[0:1], 0x0
	v_mov_b32_e32 v2, s14
	v_mov_b32_e32 v3, s15
	s_movk_i32 s2, 0xa5
	s_waitcnt lgkmcnt(0)
	s_load_dwordx4 s[12:15], s[8:9], 0x0
	v_mul_lo_u16_sdwa v1, v1, s2 dst_sel:DWORD dst_unused:UNUSED_PAD src0_sel:WORD_1 src1_sel:DWORD
	v_sub_u16_e32 v62, v0, v1
	v_mov_b32_e32 v22, 0xf78
	v_lshlrev_b32_e32 v60, 3, v62
	s_waitcnt lgkmcnt(0)
	v_mad_u64_u32 v[0:1], s[2:3], s14, v72, 0
	v_mov_b32_e32 v4, v1
	v_mad_u64_u32 v[4:5], s[2:3], s15, v72, v[4:5]
	v_mov_b32_e32 v1, v4
	v_mad_u64_u32 v[4:5], s[2:3], s12, v62, 0
	v_mov_b32_e32 v6, v5
	v_mad_u64_u32 v[6:7], s[2:3], s13, v62, v[6:7]
	v_mov_b32_e32 v5, v6
	v_lshl_add_u64 v[0:1], v[0:1], 3, v[2:3]
	v_lshl_add_u64 v[0:1], v[4:5], 3, v[0:1]
	global_load_dwordx2 v[2:3], v[0:1], off
	v_mad_u64_u32 v[0:1], s[2:3], s12, v22, v[0:1]
	s_mul_i32 s8, s13, 0xf78
	v_add_u32_e32 v1, s8, v1
	v_mov_b32_e32 v61, v63
	global_load_dwordx2 v[6:7], v[0:1], off
	global_load_dwordx2 v[80:81], v60, s[4:5] offset:3960
	v_mad_u64_u32 v[0:1], s[2:3], s12, v22, v[0:1]
	v_lshl_add_u64 v[4:5], s[4:5], 0, v[60:61]
	v_add_u32_e32 v1, s8, v1
	s_movk_i32 s2, 0x1000
	v_mov_b32_e32 v20, 0xffffe638
	v_add_co_u32_e32 v8, vcc, s2, v4
	v_mad_u64_u32 v[10:11], s[2:3], s12, v20, v[0:1]
	s_mul_i32 s2, s13, 0xffffe638
	s_sub_i32 s9, s2, s12
	v_add_u32_e32 v11, s9, v11
	v_mad_u64_u32 v[12:13], s[2:3], s12, v22, v[10:11]
	v_addc_co_u32_e32 v9, vcc, 0, v5, vcc
	global_load_dwordx2 v[82:83], v60, s[4:5]
	global_load_dwordx2 v[78:79], v60, s[4:5] offset:1320
	v_add_u32_e32 v13, s8, v13
	global_load_dwordx2 v[76:77], v[8:9], off offset:3824
	global_load_dwordx2 v[14:15], v[0:1], off
	global_load_dwordx2 v[16:17], v[10:11], off
	global_load_dwordx2 v[18:19], v[12:13], off
	global_load_dwordx2 v[70:71], v[8:9], off offset:1184
	v_mad_u64_u32 v[0:1], s[2:3], s12, v22, v[12:13]
	v_add_u32_e32 v1, s8, v1
	s_movk_i32 s2, 0x2000
	global_load_dwordx2 v[10:11], v[0:1], off
	v_add_co_u32_e32 v4, vcc, s2, v4
	v_mad_u64_u32 v[0:1], s[2:3], s12, v20, v[0:1]
	s_nop 0
	v_addc_co_u32_e32 v5, vcc, 0, v5, vcc
	v_add_u32_e32 v1, s9, v1
	global_load_dwordx2 v[74:75], v[4:5], off offset:1048
	global_load_dwordx2 v[12:13], v[0:1], off
	global_load_dwordx2 v[68:69], v60, s[4:5] offset:2640
	v_mad_u64_u32 v[0:1], s[2:3], s12, v22, v[0:1]
	v_add_u32_e32 v1, s8, v1
	global_load_dwordx2 v[20:21], v[0:1], off
	global_load_dwordx2 v[66:67], v[8:9], off offset:2504
	v_mad_u64_u32 v[0:1], s[2:3], s12, v22, v[0:1]
	v_add_u32_e32 v1, s8, v1
	global_load_dwordx2 v[64:65], v[4:5], off offset:2368
	global_load_dwordx2 v[8:9], v[0:1], off
	s_load_dwordx4 s[8:11], s[10:11], 0x0
	s_waitcnt vmcnt(14)
	v_mul_f32_e32 v0, v3, v83
	v_mul_f32_e32 v1, v2, v83
	v_fmac_f32_e32 v0, v2, v82
	v_fma_f32 v1, v3, v82, -v1
	v_mul_f32_e32 v2, v7, v81
	v_mul_f32_e32 v3, v6, v81
	v_fmac_f32_e32 v2, v6, v80
	v_fma_f32 v3, v7, v80, -v3
	ds_write_b64 v60, v[2:3] offset:3960
	s_waitcnt vmcnt(11)
	v_mul_f32_e32 v2, v15, v77
	v_mul_f32_e32 v3, v14, v77
	v_fmac_f32_e32 v2, v14, v76
	v_fma_f32 v3, v15, v76, -v3
	ds_write_b64 v60, v[2:3] offset:7920
	s_waitcnt vmcnt(10)
	v_mul_f32_e32 v2, v17, v79
	v_mul_f32_e32 v3, v16, v79
	v_fmac_f32_e32 v2, v16, v78
	v_fma_f32 v3, v17, v78, -v3
	s_waitcnt vmcnt(4)
	v_mul_f32_e32 v4, v13, v69
	v_mul_f32_e32 v5, v12, v69
	v_fmac_f32_e32 v4, v12, v68
	v_fma_f32 v5, v13, v68, -v5
	ds_write2_b64 v60, v[0:1], v[2:3] offset1:165
	v_mul_f32_e32 v0, v19, v71
	v_mul_f32_e32 v1, v18, v71
	ds_write_b64 v60, v[4:5] offset:2640
	s_waitcnt vmcnt(2)
	v_mul_f32_e32 v4, v21, v67
	v_mul_f32_e32 v5, v20, v67
	v_fmac_f32_e32 v0, v18, v70
	v_fma_f32 v1, v19, v70, -v1
	v_fmac_f32_e32 v4, v20, v66
	v_fma_f32 v5, v21, v66, -v5
	v_add_u32_e32 v6, 0x1400, v60
	v_mul_f32_e32 v2, v11, v75
	v_mul_f32_e32 v3, v10, v75
	ds_write2_b64 v6, v[0:1], v[4:5] offset0:20 offset1:185
	s_waitcnt vmcnt(0)
	v_mul_f32_e32 v0, v9, v65
	v_mul_f32_e32 v1, v8, v65
	v_fmac_f32_e32 v2, v10, v74
	v_fma_f32 v3, v11, v74, -v3
	v_fmac_f32_e32 v0, v8, v64
	v_fma_f32 v1, v9, v64, -v1
	v_add_u32_e32 v4, 0x2400, v60
	ds_write2_b64 v4, v[2:3], v[0:1] offset0:3 offset1:168
	s_waitcnt lgkmcnt(0)
	s_barrier
	ds_read2_b64 v[0:3], v6 offset0:20 offset1:185
	v_add_u32_e32 v4, 0x1e00, v60
	ds_read2_b64 v[4:7], v4 offset0:30 offset1:195
	ds_read2_b64 v[8:11], v60 offset1:165
	s_load_dwordx2 s[12:13], s[0:1], 0x38
	s_mov_b64 s[0:1], 0xa5
	v_lshl_add_u64 v[56:57], v[62:63], 0, s[0:1]
	s_mov_b64 s[0:1], 0x14a
	s_waitcnt lgkmcnt(0)
	v_pk_add_f32 v[12:13], v[0:1], v[6:7]
	v_lshl_add_u64 v[58:59], v[62:63], 0, s[0:1]
	v_pk_fma_f32 v[16:17], v[12:13], 0.5, v[10:11] op_sel_hi:[1,0,1] neg_lo:[1,0,0] neg_hi:[1,0,0]
	v_pk_add_f32 v[12:13], v[0:1], v[6:7] neg_lo:[0,1] neg_hi:[0,1]
	s_mov_b32 s0, 0x3f5db3d7
	v_pk_mul_f32 v[18:19], v[12:13], s[0:1] op_sel_hi:[1,0]
	v_add_u32_e32 v12, 0x800, v60
	ds_read2_b64 v[12:15], v12 offset0:74 offset1:239
	v_pk_add_f32 v[26:27], v[16:17], v[18:19] op_sel:[0,1] op_sel_hi:[1,0] neg_lo:[0,1] neg_hi:[0,1]
	v_pk_add_f32 v[18:19], v[16:17], v[18:19] op_sel:[0,1] op_sel_hi:[1,0]
	v_mul_lo_u16_e32 v16, 3, v62
	ds_read_b64 v[20:21], v60 offset:10560
	v_lshlrev_b32_e32 v57, 3, v16
	s_waitcnt lgkmcnt(1)
	v_pk_add_f32 v[16:17], v[8:9], v[14:15]
	v_pk_add_f32 v[22:23], v[14:15], v[4:5]
	;; [unrolled: 1-line block ×3, first 2 shown]
	v_pk_add_f32 v[4:5], v[14:15], v[4:5] neg_lo:[0,1] neg_hi:[0,1]
	v_pk_fma_f32 v[8:9], v[22:23], 0.5, v[8:9] op_sel_hi:[1,0,1] neg_lo:[1,0,0] neg_hi:[1,0,0]
	v_pk_mul_f32 v[4:5], v[4:5], s[0:1] op_sel_hi:[1,0]
	s_waitcnt lgkmcnt(0)
	v_pk_add_f32 v[14:15], v[8:9], v[4:5] op_sel:[0,1] op_sel_hi:[1,0]
	v_pk_add_f32 v[4:5], v[8:9], v[4:5] op_sel:[0,1] op_sel_hi:[1,0] neg_lo:[0,1] neg_hi:[0,1]
	v_mov_b32_e32 v8, v14
	v_mov_b32_e32 v9, v5
	s_barrier
	ds_write2_b64 v57, v[16:17], v[8:9] offset1:1
	v_pk_add_f32 v[8:9], v[2:3], v[20:21]
	v_pk_add_f32 v[0:1], v[10:11], v[0:1]
	v_pk_fma_f32 v[8:9], v[8:9], 0.5, v[12:13] op_sel_hi:[1,0,1] neg_lo:[1,0,0] neg_hi:[1,0,0]
	v_pk_add_f32 v[12:13], v[12:13], v[2:3]
	v_pk_add_f32 v[2:3], v[2:3], v[20:21] neg_lo:[0,1] neg_hi:[0,1]
	v_pk_add_f32 v[22:23], v[12:13], v[20:21]
	v_pk_mul_f32 v[2:3], v[2:3], s[0:1] op_sel_hi:[1,0]
	v_mov_b32_e32 v17, v19
	v_pk_add_f32 v[20:21], v[8:9], v[2:3] op_sel:[0,1] op_sel_hi:[1,0] neg_lo:[0,1] neg_hi:[0,1]
	v_pk_add_f32 v[24:25], v[8:9], v[2:3] op_sel:[0,1] op_sel_hi:[1,0]
	v_mul_u32_u24_e32 v2, 3, v56
	v_mov_b32_e32 v5, v15
	v_lshlrev_b32_e32 v59, 3, v2
	v_pk_add_f32 v[0:1], v[0:1], v[6:7]
	v_mov_b32_e32 v19, v27
	v_mov_b32_e32 v16, v26
	ds_write_b64 v57, v[4:5] offset:16
	ds_write2_b64 v59, v[0:1], v[18:19] offset1:1
	ds_write_b64 v59, v[16:17] offset:16
	v_mul_u32_u24_e32 v0, 3, v58
	v_lshlrev_b32_e32 v61, 3, v0
	v_mov_b32_e32 v0, v24
	v_mov_b32_e32 v1, v21
	ds_write2_b64 v61, v[22:23], v[0:1] offset1:1
	v_mov_b32_e32 v0, v20
	v_mov_b32_e32 v1, v25
	ds_write_b64 v61, v[0:1] offset:16
	s_waitcnt lgkmcnt(0)
	s_barrier
	ds_read_b64 v[32:33], v60 offset:7128
	ds_read_b64 v[26:27], v60 offset:4752
	;; [unrolled: 1-line block ×3, first 2 shown]
	ds_read_b64 v[18:19], v60
	ds_read_b64 v[28:29], v60 offset:9504
	s_movk_i32 s0, 0x84
	v_cmp_gt_u16_e32 vcc, s0, v62
	s_movk_i32 s0, 0x83
	v_cmp_lt_u16_e64 s[0:1], s0, v62
	s_and_saveexec_b64 s[2:3], s[0:1]
	s_xor_b64 s[2:3], exec, s[2:3]
	s_or_saveexec_b64 s[2:3], s[2:3]
                                        ; implicit-def: $vgpr34
                                        ; implicit-def: $vgpr36
	s_xor_b64 exec, exec, s[2:3]
	s_cbranch_execz .LBB0_3
; %bb.2:
	ds_read_b64 v[0:1], v60 offset:6072
	ds_read_b64 v[20:21], v60 offset:8448
	;; [unrolled: 1-line block ×5, first 2 shown]
	s_waitcnt lgkmcnt(4)
	v_mov_b32_e32 v24, v0
	s_waitcnt lgkmcnt(3)
	v_mov_b32_e32 v25, v21
	v_mov_b32_e32 v21, v1
	s_waitcnt lgkmcnt(2)
	v_mov_b32_e32 v36, v35
.LBB0_3:
	s_or_b64 exec, exec, s[2:3]
	s_movk_i32 s2, 0xab
	v_mul_lo_u16_sdwa v0, v62, s2 dst_sel:DWORD dst_unused:UNUSED_PAD src0_sel:BYTE_0 src1_sel:DWORD
	v_lshrrev_b16_e32 v63, 9, v0
	v_mul_lo_u16_e32 v0, 3, v63
	v_sub_u16_e32 v0, v62, v0
	v_and_b32_e32 v73, 0xff, v0
	v_lshlrev_b32_e32 v0, 5, v73
	s_mov_b32 s2, 0xaaab
	global_load_dwordx4 v[8:11], v0, s[6:7]
	global_load_dwordx4 v[12:15], v0, s[6:7] offset:16
	v_mul_u32_u24_sdwa v0, v56, s2 dst_sel:DWORD dst_unused:UNUSED_PAD src0_sel:WORD_0 src1_sel:DWORD
	v_lshrrev_b32_e32 v92, 17, v0
	v_mul_lo_u16_e32 v0, 3, v92
	v_sub_u16_e32 v93, v56, v0
	v_lshlrev_b16_e32 v0, 2, v93
	v_lshlrev_b32_e32 v35, 3, v0
	global_load_dwordx4 v[4:7], v35, s[6:7]
	global_load_dwordx4 v[0:3], v35, s[6:7] offset:16
	s_mov_b32 s14, 0x3f737871
	s_mov_b32 s16, 0x3f167918
	;; [unrolled: 1-line block ×3, first 2 shown]
	v_mad_legacy_u16 v152, v92, 15, v93
	s_waitcnt lgkmcnt(0)
	s_barrier
	s_waitcnt vmcnt(3)
	v_mov_b32_e32 v38, v11
	s_waitcnt vmcnt(2)
	v_pk_mul_f32 v[40:41], v[32:33], v[12:13] op_sel:[0,1]
	v_mov_b32_e32 v50, v15
	v_pk_mul_f32 v[42:43], v[30:31], v[8:9] op_sel:[0,1]
	v_pk_mul_f32 v[38:39], v[26:27], v[38:39] op_sel_hi:[1,0]
	v_pk_fma_f32 v[52:53], v[32:33], v[12:13], v[40:41] op_sel:[0,0,1] op_sel_hi:[1,1,0] neg_lo:[0,0,1] neg_hi:[0,0,1]
	v_pk_fma_f32 v[32:33], v[32:33], v[12:13], v[40:41] op_sel:[0,0,1] op_sel_hi:[1,0,0]
	v_pk_fma_f32 v[40:41], v[30:31], v[8:9], v[42:43] op_sel:[0,0,1] op_sel_hi:[1,1,0] neg_lo:[0,0,1] neg_hi:[0,0,1]
	s_waitcnt vmcnt(0)
	v_pk_mul_f32 v[36:37], v[36:37], v[2:3] op_sel_hi:[0,1]
	v_pk_fma_f32 v[90:91], v[34:35], v[2:3], v[36:37] op_sel:[0,0,1] op_sel_hi:[1,1,0] neg_lo:[0,0,1] neg_hi:[0,0,1]
	v_pk_fma_f32 v[34:35], v[34:35], v[2:3], v[36:37] op_sel:[0,0,1] op_sel_hi:[0,1,0]
	v_pk_mul_f32 v[36:37], v[28:29], v[50:51] op_sel_hi:[1,0]
	v_pk_mul_f32 v[48:49], v[24:25], v[0:1] op_sel:[1,0]
	v_pk_fma_f32 v[30:31], v[30:31], v[8:9], v[42:43] op_sel:[0,0,1] op_sel_hi:[1,0,0]
	v_pk_fma_f32 v[42:43], v[26:27], v[10:11], v[38:39] op_sel:[0,0,1] op_sel_hi:[1,1,0] neg_lo:[0,0,1] neg_hi:[0,0,1]
	v_pk_fma_f32 v[26:27], v[26:27], v[10:11], v[38:39] op_sel:[0,0,1] op_sel_hi:[1,0,0]
	v_mov_b32_e32 v53, v33
	v_pk_fma_f32 v[32:33], v[28:29], v[14:15], v[36:37] op_sel:[0,0,1] op_sel_hi:[1,1,0] neg_lo:[0,0,1] neg_hi:[0,0,1]
	v_pk_fma_f32 v[28:29], v[28:29], v[14:15], v[36:37] op_sel:[0,0,1] op_sel_hi:[1,0,0]
	v_pk_mul_f32 v[46:47], v[20:21], v[6:7] op_sel:[1,0]
	v_pk_fma_f32 v[88:89], v[20:21], v[0:1], v[48:49] op_sel:[0,0,1] op_sel_hi:[1,1,0] neg_lo:[0,0,1] neg_hi:[0,0,1]
	v_pk_fma_f32 v[20:21], v[20:21], v[0:1], v[48:49] op_sel:[0,0,1] op_sel_hi:[0,1,0]
	v_mov_b32_e32 v41, v31
	v_mov_b32_e32 v43, v27
	;; [unrolled: 1-line block ×5, first 2 shown]
	v_pk_add_f32 v[20:21], v[18:19], v[40:41]
	v_pk_add_f32 v[26:27], v[42:43], v[52:53]
	v_pk_add_f32 v[28:29], v[40:41], v[32:33] neg_lo:[0,1] neg_hi:[0,1]
	v_pk_add_f32 v[30:31], v[42:43], v[52:53] neg_lo:[0,1] neg_hi:[0,1]
	;; [unrolled: 1-line block ×5, first 2 shown]
	v_pk_add_f32 v[40:41], v[40:41], v[32:33]
	v_pk_mul_f32 v[44:45], v[22:23], v[4:5] op_sel:[1,0]
	v_pk_fma_f32 v[86:87], v[24:25], v[6:7], v[46:47] op_sel:[0,0,1] op_sel_hi:[1,1,0] neg_lo:[0,0,1] neg_hi:[0,0,1]
	v_pk_fma_f32 v[24:25], v[24:25], v[6:7], v[46:47] op_sel:[0,0,1] op_sel_hi:[0,1,0]
	v_pk_add_f32 v[20:21], v[20:21], v[42:43]
	v_pk_add_f32 v[42:43], v[52:53], v[32:33] neg_lo:[0,1] neg_hi:[0,1]
	v_pk_add_f32 v[34:35], v[34:35], v[36:37]
	v_pk_fma_f32 v[26:27], v[26:27], 0.5, v[18:19] op_sel_hi:[1,0,1] neg_lo:[1,0,0] neg_hi:[1,0,0]
	v_pk_mul_f32 v[36:37], v[28:29], s[14:15] op_sel_hi:[1,0]
	v_pk_fma_f32 v[18:19], v[40:41], 0.5, v[18:19] op_sel_hi:[1,0,1] neg_lo:[1,0,0] neg_hi:[1,0,0]
	v_pk_mul_f32 v[40:41], v[30:31], s[16:17] op_sel_hi:[1,0]
	v_pk_mul_f32 v[30:31], v[30:31], s[14:15] op_sel_hi:[1,0]
	v_pk_fma_f32 v[84:85], v[22:23], v[4:5], v[44:45] op_sel:[0,0,1] op_sel_hi:[1,1,0] neg_lo:[0,0,1] neg_hi:[0,0,1]
	v_pk_fma_f32 v[22:23], v[22:23], v[4:5], v[44:45] op_sel:[0,0,1] op_sel_hi:[0,1,0]
	v_mov_b32_e32 v87, v25
	v_pk_add_f32 v[20:21], v[20:21], v[52:53]
	v_pk_mul_f32 v[28:29], v[28:29], s[16:17] op_sel_hi:[1,0]
	v_pk_add_f32 v[42:43], v[38:39], v[42:43]
	v_pk_add_f32 v[38:39], v[26:27], v[36:37] op_sel:[0,1] op_sel_hi:[1,0]
	v_pk_add_f32 v[26:27], v[26:27], v[36:37] op_sel:[0,1] op_sel_hi:[1,0] neg_lo:[0,1] neg_hi:[0,1]
	v_pk_add_f32 v[44:45], v[18:19], v[30:31] op_sel:[0,1] op_sel_hi:[1,0] neg_lo:[0,1] neg_hi:[0,1]
	v_pk_add_f32 v[18:19], v[18:19], v[30:31] op_sel:[0,1] op_sel_hi:[1,0]
	v_mov_b32_e32 v85, v23
	v_pk_add_f32 v[22:23], v[86:87], v[88:89]
	v_pk_add_f32 v[36:37], v[20:21], v[32:33]
	v_pk_add_f32 v[20:21], v[26:27], v[40:41] op_sel:[0,1] op_sel_hi:[1,0] neg_lo:[0,1] neg_hi:[0,1]
	v_pk_add_f32 v[26:27], v[38:39], v[40:41] op_sel:[0,1] op_sel_hi:[1,0]
	v_pk_add_f32 v[18:19], v[18:19], v[28:29] op_sel:[0,1] op_sel_hi:[1,0] neg_lo:[0,1] neg_hi:[0,1]
	v_pk_add_f32 v[28:29], v[44:45], v[28:29] op_sel:[0,1] op_sel_hi:[1,0]
	v_pk_add_f32 v[24:25], v[84:85], v[90:91] neg_lo:[0,1] neg_hi:[0,1]
	v_pk_fma_f32 v[22:23], v[22:23], 0.5, v[16:17] op_sel_hi:[1,0,1] neg_lo:[1,0,0] neg_hi:[1,0,0]
	v_mov_b32_e32 v31, v21
	v_mov_b32_e32 v21, v27
	;; [unrolled: 1-line block ×4, first 2 shown]
	v_pk_fma_f32 v[48:49], v[24:25], s[14:15], v[22:23] op_sel:[1,0,0] op_sel_hi:[0,0,1]
	v_mov_b32_e32 v30, v26
	v_pk_fma_f32 v[40:41], v[34:35], s[2:3], v[20:21] op_sel_hi:[1,0,1]
	v_pk_fma_f32 v[46:47], v[42:43], s[2:3], v[18:19] op_sel_hi:[1,0,1]
	v_pk_fma_f32 v[18:19], v[24:25], s[14:15], v[22:23] op_sel:[1,0,0] op_sel_hi:[0,0,1] neg_lo:[1,0,0] neg_hi:[1,0,0]
	v_pk_add_f32 v[20:21], v[86:87], v[88:89] neg_lo:[0,1] neg_hi:[0,1]
	v_mov_b32_e32 v26, v28
	v_pk_fma_f32 v[38:39], v[34:35], s[2:3], v[30:31] op_sel_hi:[1,0,1]
	v_pk_fma_f32 v[18:19], v[20:21], s[16:17], v[18:19] op_sel:[1,0,0] op_sel_hi:[0,0,1] neg_lo:[1,0,0] neg_hi:[1,0,0]
	v_pk_fma_f32 v[22:23], v[20:21], s[16:17], v[48:49] op_sel:[1,0,0] op_sel_hi:[0,0,1]
	v_pk_add_f32 v[28:29], v[84:85], v[86:87] neg_lo:[0,1] neg_hi:[0,1]
	v_pk_add_f32 v[30:31], v[90:91], v[88:89] neg_lo:[0,1] neg_hi:[0,1]
	v_pk_fma_f32 v[44:45], v[42:43], s[2:3], v[26:27] op_sel_hi:[1,0,1]
	v_mov_b32_e32 v27, v19
	v_pk_add_f32 v[28:29], v[28:29], v[30:31]
	v_mov_b32_e32 v19, v23
	v_pk_fma_f32 v[54:55], v[28:29], s[2:3], v[18:19] op_sel_hi:[1,0,1]
	v_pk_add_f32 v[18:19], v[84:85], v[90:91]
	v_pk_add_f32 v[30:31], v[16:17], v[84:85]
	v_pk_fma_f32 v[16:17], v[18:19], 0.5, v[16:17] op_sel_hi:[1,0,1] neg_lo:[1,0,0] neg_hi:[1,0,0]
	v_mov_b32_e32 v26, v22
	v_pk_fma_f32 v[18:19], v[20:21], s[14:15], v[16:17] op_sel:[1,0,0] op_sel_hi:[0,0,1] neg_lo:[1,0,0] neg_hi:[1,0,0]
	v_pk_fma_f32 v[16:17], v[20:21], s[14:15], v[16:17] op_sel:[1,0,0] op_sel_hi:[0,0,1]
	v_pk_fma_f32 v[16:17], v[24:25], s[16:17], v[16:17] op_sel:[1,0,0] op_sel_hi:[0,0,1] neg_lo:[1,0,0] neg_hi:[1,0,0]
	v_pk_fma_f32 v[18:19], v[24:25], s[16:17], v[18:19] op_sel:[1,0,0] op_sel_hi:[0,0,1]
	v_pk_add_f32 v[22:23], v[86:87], v[84:85] neg_lo:[0,1] neg_hi:[0,1]
	v_pk_add_f32 v[24:25], v[88:89], v[90:91] neg_lo:[0,1] neg_hi:[0,1]
	v_pk_add_f32 v[30:31], v[30:31], v[86:87]
	v_mov_b32_e32 v21, v17
	v_pk_add_f32 v[22:23], v[22:23], v[24:25]
	v_mov_b32_e32 v17, v19
	;; [unrolled: 2-line block ×3, first 2 shown]
	v_pk_fma_f32 v[52:53], v[22:23], s[2:3], v[16:17] op_sel_hi:[1,0,1]
	v_mul_u32_u24_e32 v16, 15, v63
	v_pk_add_f32 v[42:43], v[30:31], v[90:91]
	v_pk_fma_f32 v[48:49], v[28:29], s[2:3], v[26:27] op_sel_hi:[1,0,1]
	v_pk_fma_f32 v[50:51], v[22:23], s[2:3], v[20:21] op_sel_hi:[1,0,1]
	v_add_lshl_u32 v153, v16, v73, 3
	ds_write2_b64 v153, v[36:37], v[38:39] offset1:3
	ds_write2_b64 v153, v[44:45], v[46:47] offset0:6 offset1:9
	ds_write_b64 v153, v[40:41] offset:96
	s_and_saveexec_b64 s[2:3], vcc
	s_cbranch_execz .LBB0_5
; %bb.4:
	v_lshlrev_b32_e32 v16, 3, v152
	ds_write2_b64 v16, v[42:43], v[48:49] offset1:3
	ds_write2_b64 v16, v[50:51], v[52:53] offset0:6 offset1:9
	ds_write_b64 v16, v[54:55] offset:96
.LBB0_5:
	s_or_b64 exec, exec, s[2:3]
	s_movk_i32 s2, 0x87
	v_cmp_gt_u16_e64 s[2:3], s2, v62
	s_waitcnt lgkmcnt(0)
	s_barrier
	s_waitcnt lgkmcnt(0)
                                        ; implicit-def: $vgpr84
                                        ; implicit-def: $vgpr86
	s_and_saveexec_b64 s[14:15], s[2:3]
	s_cbranch_execz .LBB0_7
; %bb.6:
	v_add_u32_e32 v16, 0x800, v60
	ds_read2_b64 v[44:47], v16 offset0:14 offset1:149
	v_add_u32_e32 v16, 0x1000, v60
	ds_read2_b64 v[40:43], v16 offset0:28 offset1:163
	v_add_u32_e32 v16, 0x1800, v60
	ds_read2_b64 v[36:39], v60 offset1:135
	ds_read2_b64 v[48:51], v16 offset0:42 offset1:177
	v_add_u32_e32 v16, 0x2000, v60
	ds_read_b64 v[84:85], v60 offset:10800
	ds_read2_b64 v[52:55], v16 offset0:56 offset1:191
	s_waitcnt lgkmcnt(1)
	v_mov_b32_e32 v86, v85
.LBB0_7:
	s_or_b64 exec, exec, s[14:15]
	s_movk_i32 s14, 0x89
	v_mul_lo_u16_sdwa v16, v62, s14 dst_sel:DWORD dst_unused:UNUSED_PAD src0_sel:BYTE_0 src1_sel:DWORD
	v_lshrrev_b16_e32 v63, 11, v16
	v_mul_lo_u16_e32 v16, 15, v63
	v_sub_u16_e32 v16, v62, v16
	v_and_b32_e32 v73, 0xff, v16
	s_movk_i32 s14, 0x50
	v_mov_b64_e32 v[16:17], s[6:7]
	v_mad_u64_u32 v[88:89], s[14:15], v73, s14, v[16:17]
	global_load_dwordx4 v[16:19], v[88:89], off offset:96
	global_load_dwordx4 v[28:31], v[88:89], off offset:112
	;; [unrolled: 1-line block ×5, first 2 shown]
	s_mov_b32 s22, 0xbf0a6770
	s_mov_b32 s16, 0x3f575c64
	;; [unrolled: 1-line block ×13, first 2 shown]
	s_waitcnt lgkmcnt(0)
	s_barrier
	s_waitcnt vmcnt(4)
	v_pk_mul_f32 v[90:91], v[38:39], v[16:17] op_sel:[1,0]
	v_pk_mul_f32 v[92:93], v[44:45], v[18:19] op_sel:[1,0]
	s_waitcnt vmcnt(3)
	v_pk_mul_f32 v[94:95], v[46:47], v[28:29] op_sel:[1,0]
	v_pk_mul_f32 v[96:97], v[40:41], v[30:31] op_sel:[1,0]
	;; [unrolled: 3-line block ×4, first 2 shown]
	s_waitcnt vmcnt(0)
	v_pk_mul_f32 v[106:107], v[54:55], v[32:33] op_sel:[1,0]
	v_pk_mul_f32 v[86:87], v[86:87], v[34:35] op_sel_hi:[0,1]
	v_pk_fma_f32 v[88:89], v[38:39], v[16:17], v[90:91] op_sel:[0,0,1] op_sel_hi:[1,1,0] neg_lo:[0,0,1] neg_hi:[0,0,1]
	v_pk_fma_f32 v[38:39], v[38:39], v[16:17], v[90:91] op_sel:[0,0,1] op_sel_hi:[0,1,0]
	v_pk_fma_f32 v[90:91], v[44:45], v[18:19], v[92:93] op_sel:[0,0,1] op_sel_hi:[1,1,0] neg_lo:[0,0,1] neg_hi:[0,0,1]
	v_pk_fma_f32 v[44:45], v[44:45], v[18:19], v[92:93] op_sel:[0,0,1] op_sel_hi:[0,1,0]
	;; [unrolled: 2-line block ×10, first 2 shown]
	v_mov_b32_e32 v89, v39
	v_mov_b32_e32 v55, v85
	;; [unrolled: 1-line block ×4, first 2 shown]
	v_pk_add_f32 v[118:119], v[88:89], v[54:55] neg_lo:[0,1] neg_hi:[0,1]
	v_mov_b32_e32 v93, v47
	v_mov_b32_e32 v95, v41
	;; [unrolled: 1-line block ×4, first 2 shown]
	v_pk_add_f32 v[48:49], v[88:89], v[54:55]
	v_pk_add_f32 v[120:121], v[90:91], v[52:53] neg_lo:[0,1] neg_hi:[0,1]
	v_pk_mul_f32 v[40:41], v[118:119], s[22:23] op_sel:[1,0] op_sel_hi:[0,0]
	v_mov_b32_e32 v101, v103
	v_pk_add_f32 v[46:47], v[90:91], v[52:53]
	v_pk_add_f32 v[122:123], v[92:93], v[50:51] neg_lo:[0,1] neg_hi:[0,1]
	v_pk_mul_f32 v[84:85], v[120:121], s[30:31] op_sel:[1,0] op_sel_hi:[0,0]
	v_pk_fma_f32 v[114:115], v[48:49], s[16:17], v[40:41] op_sel_hi:[1,0,1]
	v_pk_fma_f32 v[116:117], v[48:49], s[16:17], v[40:41] op_sel_hi:[1,0,1] neg_lo:[0,0,1] neg_hi:[0,0,1]
	v_pk_add_f32 v[44:45], v[92:93], v[50:51]
	v_pk_add_f32 v[124:125], v[94:95], v[100:101] neg_lo:[0,1] neg_hi:[0,1]
	v_pk_mul_f32 v[86:87], v[122:123], s[20:21] op_sel:[1,0] op_sel_hi:[0,0]
	v_pk_fma_f32 v[110:111], v[46:47], s[14:15], v[84:85] op_sel_hi:[1,0,1]
	v_pk_fma_f32 v[112:113], v[46:47], s[14:15], v[84:85] op_sel_hi:[1,0,1] neg_lo:[0,0,1] neg_hi:[0,0,1]
	v_mov_b32_e32 v40, v114
	v_mov_b32_e32 v41, v117
	v_mov_b32_e32 v97, v43
	v_pk_add_f32 v[42:43], v[94:95], v[100:101]
	v_pk_mul_f32 v[104:105], v[124:125], s[26:27] op_sel:[1,0] op_sel_hi:[0,0]
	v_pk_fma_f32 v[106:107], v[44:45], s[18:19], v[86:87] op_sel_hi:[1,0,1]
	v_pk_fma_f32 v[108:109], v[44:45], s[18:19], v[86:87] op_sel_hi:[1,0,1] neg_lo:[0,0,1] neg_hi:[0,0,1]
	v_mov_b32_e32 v84, v110
	v_mov_b32_e32 v85, v113
	v_pk_add_f32 v[40:41], v[36:37], v[40:41]
	v_pk_add_f32 v[126:127], v[96:97], v[98:99] neg_lo:[0,1] neg_hi:[0,1]
	v_pk_fma_f32 v[102:103], v[42:43], s[24:25], v[104:105] op_sel_hi:[1,0,1]
	v_pk_fma_f32 v[104:105], v[42:43], s[24:25], v[104:105] op_sel_hi:[1,0,1] neg_lo:[0,0,1] neg_hi:[0,0,1]
	v_mov_b32_e32 v86, v106
	v_mov_b32_e32 v87, v109
	v_pk_add_f32 v[40:41], v[84:85], v[40:41]
	v_pk_add_f32 v[38:39], v[96:97], v[98:99]
	v_mov_b32_e32 v128, v102
	v_mov_b32_e32 v129, v105
	v_pk_add_f32 v[40:41], v[86:87], v[40:41]
	v_pk_mul_f32 v[84:85], v[126:127], s[34:35] op_sel:[1,0] op_sel_hi:[0,0]
	v_pk_add_f32 v[40:41], v[128:129], v[40:41]
	v_pk_fma_f32 v[128:129], v[38:39], s[28:29], v[84:85] op_sel_hi:[1,0,1]
	v_pk_fma_f32 v[130:131], v[38:39], s[28:29], v[84:85] op_sel_hi:[1,0,1] neg_lo:[0,0,1] neg_hi:[0,0,1]
	v_mov_b32_e32 v84, v128
	v_mov_b32_e32 v85, v131
	v_pk_add_f32 v[84:85], v[84:85], v[40:41]
	v_pk_mul_f32 v[40:41], v[118:119], s[30:31] op_sel:[1,0] op_sel_hi:[0,0]
	v_pk_fma_f32 v[132:133], v[48:49], s[14:15], v[40:41] op_sel_hi:[1,0,1]
	v_pk_fma_f32 v[134:135], v[48:49], s[14:15], v[40:41] op_sel_hi:[1,0,1] neg_lo:[0,0,1] neg_hi:[0,0,1]
	v_pk_mul_f32 v[86:87], v[120:121], s[26:27] op_sel:[1,0] op_sel_hi:[0,0]
	v_mov_b32_e32 v40, v132
	v_mov_b32_e32 v41, v135
	v_pk_fma_f32 v[136:137], v[46:47], s[24:25], v[86:87] op_sel_hi:[1,0,1]
	v_pk_fma_f32 v[138:139], v[46:47], s[24:25], v[86:87] op_sel_hi:[1,0,1] neg_lo:[0,0,1] neg_hi:[0,0,1]
	v_pk_add_f32 v[40:41], v[36:37], v[40:41]
	v_mov_b32_e32 v86, v136
	v_mov_b32_e32 v87, v139
	v_pk_add_f32 v[40:41], v[86:87], v[40:41]
	v_pk_mul_f32 v[86:87], v[122:123], s[40:41] op_sel:[1,0] op_sel_hi:[0,0]
	v_pk_fma_f32 v[140:141], v[44:45], s[28:29], v[86:87] op_sel_hi:[1,0,1]
	v_pk_fma_f32 v[142:143], v[44:45], s[28:29], v[86:87] op_sel_hi:[1,0,1] neg_lo:[0,0,1] neg_hi:[0,0,1]
	v_mov_b32_e32 v86, v140
	v_mov_b32_e32 v87, v143
	v_pk_add_f32 v[40:41], v[86:87], v[40:41]
	v_pk_mul_f32 v[86:87], v[124:125], s[38:39] op_sel:[1,0] op_sel_hi:[0,0]
	v_pk_fma_f32 v[144:145], v[42:43], s[18:19], v[86:87] op_sel_hi:[1,0,1]
	v_pk_fma_f32 v[146:147], v[42:43], s[18:19], v[86:87] op_sel_hi:[1,0,1] neg_lo:[0,0,1] neg_hi:[0,0,1]
	;; [unrolled: 6-line block ×3, first 2 shown]
	v_mov_b32_e32 v86, v148
	v_mov_b32_e32 v87, v151
	v_pk_add_f32 v[86:87], v[86:87], v[40:41]
	v_mov_b32_e32 v41, 0
	s_and_saveexec_b64 s[30:31], s[2:3]
	s_cbranch_execz .LBB0_9
; %bb.8:
	v_pk_add_f32 v[88:89], v[36:37], v[88:89]
	v_mov_b32_e32 v117, v115
	v_pk_add_f32 v[88:89], v[88:89], v[90:91]
	v_mov_b32_e32 v113, v111
	;; [unrolled: 2-line block ×4, first 2 shown]
	v_pk_add_f32 v[88:89], v[88:89], v[96:97]
	v_mul_u32_u24_e32 v40, 0xa5, v63
	v_pk_add_f32 v[88:89], v[88:89], v[98:99]
	v_mov_b32_e32 v131, v129
	v_pk_add_f32 v[88:89], v[88:89], v[100:101]
	v_mov_b32_e32 v154, v119
	;; [unrolled: 2-line block ×3, first 2 shown]
	v_pk_add_f32 v[50:51], v[50:51], v[52:53]
	v_pk_add_f32 v[52:53], v[36:37], v[116:117]
	v_add_lshl_u32 v40, v40, v73, 3
	v_pk_add_f32 v[52:53], v[112:113], v[52:53]
	v_pk_add_f32 v[50:51], v[50:51], v[54:55]
	;; [unrolled: 1-line block ×3, first 2 shown]
	v_mov_b32_e32 v118, v121
	v_pk_add_f32 v[52:53], v[104:105], v[52:53]
	v_mov_b32_e32 v119, v120
	v_pk_add_f32 v[52:53], v[130:131], v[52:53]
	ds_write2_b64 v40, v[50:51], v[52:53] offset1:15
	v_pk_mul_f32 v[52:53], v[154:155], s[20:21] op_sel_hi:[1,0]
	v_pk_mul_f32 v[90:91], v[118:119], s[40:41] op_sel_hi:[1,0]
	v_pk_fma_f32 v[54:55], v[48:49], s[18:19], v[52:53] op_sel_hi:[1,0,1] neg_lo:[0,0,1] neg_hi:[0,0,1]
	v_pk_fma_f32 v[52:53], v[48:49], s[18:19], v[52:53] op_sel_hi:[1,0,1]
	v_mov_b32_e32 v88, v54
	v_mov_b32_e32 v89, v53
	v_pk_fma_f32 v[92:93], v[46:47], s[28:29], v[90:91] op_sel_hi:[1,0,1] neg_lo:[0,0,1] neg_hi:[0,0,1]
	v_pk_fma_f32 v[90:91], v[46:47], s[28:29], v[90:91] op_sel_hi:[1,0,1]
	v_mov_b32_e32 v120, v123
	v_mov_b32_e32 v121, v122
	v_pk_add_f32 v[88:89], v[36:37], v[88:89]
	v_mov_b32_e32 v94, v92
	v_mov_b32_e32 v95, v91
	s_mov_b32 s40, 0x3f68dda4
	v_pk_add_f32 v[88:89], v[94:95], v[88:89]
	v_pk_mul_f32 v[94:95], v[120:121], s[40:41] op_sel_hi:[1,0]
	v_mov_b32_e32 v122, v125
	v_pk_fma_f32 v[96:97], v[44:45], s[14:15], v[94:95] op_sel_hi:[1,0,1] neg_lo:[0,0,1] neg_hi:[0,0,1]
	v_pk_fma_f32 v[94:95], v[44:45], s[14:15], v[94:95] op_sel_hi:[1,0,1]
	v_mov_b32_e32 v123, v124
	v_mov_b32_e32 v98, v96
	;; [unrolled: 1-line block ×3, first 2 shown]
	v_pk_add_f32 v[88:89], v[98:99], v[88:89]
	v_pk_mul_f32 v[98:99], v[122:123], s[22:23] op_sel_hi:[1,0]
	v_mov_b32_e32 v135, v133
	v_pk_fma_f32 v[100:101], v[42:43], s[16:17], v[98:99] op_sel_hi:[1,0,1] neg_lo:[0,0,1] neg_hi:[0,0,1]
	v_pk_fma_f32 v[98:99], v[42:43], s[16:17], v[98:99] op_sel_hi:[1,0,1]
	v_mov_b32_e32 v124, v127
	v_mov_b32_e32 v125, v126
	v_pk_add_f32 v[50:51], v[36:37], v[134:135]
	v_mov_b32_e32 v139, v137
	v_mov_b32_e32 v102, v100
	;; [unrolled: 1-line block ×3, first 2 shown]
	v_pk_add_f32 v[50:51], v[138:139], v[50:51]
	v_mov_b32_e32 v143, v141
	v_pk_add_f32 v[88:89], v[102:103], v[88:89]
	v_pk_mul_f32 v[102:103], v[124:125], s[26:27] op_sel_hi:[1,0]
	v_pk_add_f32 v[50:51], v[142:143], v[50:51]
	v_mov_b32_e32 v147, v145
	v_pk_fma_f32 v[104:105], v[38:39], s[24:25], v[102:103] op_sel_hi:[1,0,1] neg_lo:[0,0,1] neg_hi:[0,0,1]
	v_pk_fma_f32 v[102:103], v[38:39], s[24:25], v[102:103] op_sel_hi:[1,0,1]
	v_pk_add_f32 v[50:51], v[146:147], v[50:51]
	v_mov_b32_e32 v151, v149
	v_mov_b32_e32 v106, v104
	;; [unrolled: 1-line block ×3, first 2 shown]
	v_pk_add_f32 v[50:51], v[150:151], v[50:51]
	v_pk_add_f32 v[88:89], v[106:107], v[88:89]
	ds_write2_b64 v40, v[50:51], v[88:89] offset0:30 offset1:45
	v_pk_mul_f32 v[50:51], v[154:155], s[26:27] op_sel_hi:[1,0]
	v_pk_mul_f32 v[108:109], v[118:119], s[38:39] op_sel_hi:[1,0]
	v_pk_fma_f32 v[88:89], v[48:49], s[24:25], v[50:51] op_sel_hi:[1,0,1] neg_lo:[0,0,1] neg_hi:[0,0,1]
	v_pk_fma_f32 v[50:51], v[48:49], s[24:25], v[50:51] op_sel_hi:[1,0,1]
	v_mov_b32_e32 v106, v88
	v_mov_b32_e32 v107, v51
	v_pk_fma_f32 v[110:111], v[46:47], s[18:19], v[108:109] op_sel_hi:[1,0,1] neg_lo:[0,0,1] neg_hi:[0,0,1]
	v_pk_fma_f32 v[108:109], v[46:47], s[18:19], v[108:109] op_sel_hi:[1,0,1]
	v_pk_add_f32 v[106:107], v[36:37], v[106:107]
	v_mov_b32_e32 v112, v110
	v_mov_b32_e32 v113, v109
	v_pk_add_f32 v[106:107], v[112:113], v[106:107]
	v_pk_mul_f32 v[112:113], v[120:121], s[22:23] op_sel_hi:[1,0]
	v_pk_mul_f32 v[118:119], v[118:119], s[36:37] op_sel_hi:[1,0]
	v_pk_fma_f32 v[114:115], v[44:45], s[16:17], v[112:113] op_sel_hi:[1,0,1] neg_lo:[0,0,1] neg_hi:[0,0,1]
	v_pk_fma_f32 v[112:113], v[44:45], s[16:17], v[112:113] op_sel_hi:[1,0,1]
	v_mov_b32_e32 v116, v114
	v_mov_b32_e32 v117, v113
	v_pk_add_f32 v[106:107], v[116:117], v[106:107]
	v_pk_mul_f32 v[116:117], v[122:123], s[34:35] op_sel_hi:[1,0]
	v_pk_fma_f32 v[136:137], v[46:47], s[16:17], v[118:119] op_sel_hi:[1,0,1] neg_lo:[0,0,1] neg_hi:[0,0,1]
	v_pk_fma_f32 v[126:127], v[42:43], s[28:29], v[116:117] op_sel_hi:[1,0,1] neg_lo:[0,0,1] neg_hi:[0,0,1]
	v_pk_fma_f32 v[116:117], v[42:43], s[28:29], v[116:117] op_sel_hi:[1,0,1]
	v_mov_b32_e32 v128, v126
	v_mov_b32_e32 v129, v117
	v_pk_add_f32 v[106:107], v[128:129], v[106:107]
	v_pk_mul_f32 v[128:129], v[124:125], s[40:41] op_sel_hi:[1,0]
	v_pk_fma_f32 v[46:47], v[46:47], s[16:17], v[118:119] op_sel_hi:[1,0,1]
	v_pk_fma_f32 v[130:131], v[38:39], s[14:15], v[128:129] op_sel_hi:[1,0,1] neg_lo:[0,0,1] neg_hi:[0,0,1]
	v_pk_fma_f32 v[128:129], v[38:39], s[14:15], v[128:129] op_sel_hi:[1,0,1]
	v_mov_b32_e32 v132, v130
	v_mov_b32_e32 v133, v129
	v_pk_add_f32 v[106:107], v[132:133], v[106:107]
	v_pk_mul_f32 v[132:133], v[154:155], s[34:35] op_sel_hi:[1,0]
	v_mov_b32_e32 v118, v136
	v_pk_fma_f32 v[134:135], v[48:49], s[28:29], v[132:133] op_sel_hi:[1,0,1] neg_lo:[0,0,1] neg_hi:[0,0,1]
	v_pk_fma_f32 v[48:49], v[48:49], s[28:29], v[132:133] op_sel_hi:[1,0,1]
	v_mov_b32_e32 v132, v134
	v_mov_b32_e32 v133, v49
	v_pk_add_f32 v[132:133], v[36:37], v[132:133]
	v_mov_b32_e32 v119, v47
	v_pk_mul_f32 v[120:121], v[120:121], s[26:27] op_sel_hi:[1,0]
	v_pk_add_f32 v[118:119], v[118:119], v[132:133]
	v_pk_fma_f32 v[132:133], v[44:45], s[24:25], v[120:121] op_sel_hi:[1,0,1] neg_lo:[0,0,1] neg_hi:[0,0,1]
	v_pk_fma_f32 v[44:45], v[44:45], s[24:25], v[120:121] op_sel_hi:[1,0,1]
	v_mov_b32_e32 v120, v132
	v_mov_b32_e32 v121, v45
	v_pk_add_f32 v[118:119], v[120:121], v[118:119]
	v_pk_mul_f32 v[120:121], v[122:123], s[40:41] op_sel_hi:[1,0]
	v_mov_b32_e32 v49, v135
	v_pk_fma_f32 v[122:123], v[42:43], s[14:15], v[120:121] op_sel_hi:[1,0,1] neg_lo:[0,0,1] neg_hi:[0,0,1]
	v_pk_fma_f32 v[42:43], v[42:43], s[14:15], v[120:121] op_sel_hi:[1,0,1]
	v_mov_b32_e32 v120, v122
	v_mov_b32_e32 v121, v43
	v_pk_add_f32 v[48:49], v[36:37], v[48:49]
	v_mov_b32_e32 v47, v137
	v_pk_add_f32 v[118:119], v[120:121], v[118:119]
	v_pk_mul_f32 v[120:121], v[124:125], s[20:21] op_sel_hi:[1,0]
	v_pk_add_f32 v[46:47], v[46:47], v[48:49]
	v_mov_b32_e32 v45, v133
	v_pk_fma_f32 v[124:125], v[38:39], s[18:19], v[120:121] op_sel_hi:[1,0,1] neg_lo:[0,0,1] neg_hi:[0,0,1]
	v_pk_fma_f32 v[38:39], v[38:39], s[18:19], v[120:121] op_sel_hi:[1,0,1]
	v_pk_add_f32 v[44:45], v[44:45], v[46:47]
	v_mov_b32_e32 v43, v123
	v_mov_b32_e32 v121, v39
	v_pk_add_f32 v[42:43], v[42:43], v[44:45]
	v_mov_b32_e32 v39, v125
	v_mov_b32_e32 v51, v89
	;; [unrolled: 1-line block ×3, first 2 shown]
	v_pk_add_f32 v[38:39], v[38:39], v[42:43]
	v_pk_add_f32 v[42:43], v[36:37], v[50:51]
	v_mov_b32_e32 v109, v111
	v_pk_add_f32 v[36:37], v[36:37], v[52:53]
	v_mov_b32_e32 v91, v93
	;; [unrolled: 2-line block ×6, first 2 shown]
	v_mov_b32_e32 v120, v124
	v_pk_add_f32 v[42:43], v[116:117], v[42:43]
	v_mov_b32_e32 v129, v131
	v_pk_add_f32 v[36:37], v[98:99], v[36:37]
	v_mov_b32_e32 v103, v105
	v_pk_add_f32 v[118:119], v[120:121], v[118:119]
	v_pk_add_f32 v[42:43], v[128:129], v[42:43]
	v_pk_add_f32 v[36:37], v[102:103], v[36:37]
	ds_write2_b64 v40, v[106:107], v[118:119] offset0:60 offset1:75
	ds_write2_b64 v40, v[38:39], v[42:43] offset0:90 offset1:105
	;; [unrolled: 1-line block ×3, first 2 shown]
	ds_write_b64 v40, v[84:85] offset:1200
.LBB0_9:
	s_or_b64 exec, exec, s[30:31]
	v_lshlrev_b32_e32 v40, 3, v62
	s_mov_b32 s14, 0x8d31
	v_lshlrev_b32_e32 v108, 4, v62
	v_lshl_add_u64 v[88:89], s[4:5], 0, v[40:41]
	v_mul_u32_u24_sdwa v40, v58, s14 dst_sel:DWORD dst_unused:UNUSED_PAD src0_sel:WORD_0 src1_sel:DWORD
	s_waitcnt lgkmcnt(0)
	s_barrier
	global_load_dwordx4 v[36:39], v108, s[6:7] offset:1296
	v_sub_u16_sdwa v42, v58, v40 dst_sel:DWORD dst_unused:UNUSED_PAD src0_sel:DWORD src1_sel:WORD_1
	v_lshrrev_b16_e32 v42, 1, v42
	v_add_u16_sdwa v40, v42, v40 dst_sel:DWORD dst_unused:UNUSED_PAD src0_sel:DWORD src1_sel:WORD_1
	v_lshrrev_b16_e32 v40, 7, v40
	v_mul_lo_u16_e32 v40, 0xa5, v40
	v_sub_u16_e32 v98, v58, v40
	v_lshlrev_b16_e32 v40, 4, v98
	v_lshl_add_u64 v[40:41], s[6:7], 0, v[40:41]
	global_load_dwordx4 v[40:43], v[40:41], off offset:1296
	ds_read2_b64 v[44:47], v60 offset1:165
	v_add_u32_e32 v90, 0x800, v60
	v_add_u32_e32 v91, 0x1e00, v60
	;; [unrolled: 1-line block ×3, first 2 shown]
	ds_read_b64 v[96:97], v60 offset:10560
	ds_read2_b64 v[48:51], v90 offset0:74 offset1:239
	ds_read2_b64 v[52:55], v91 offset0:30 offset1:195
	;; [unrolled: 1-line block ×3, first 2 shown]
	v_lshlrev_b32_e32 v110, 3, v98
	s_mov_b32 s14, 0x3f5db3d7
	s_waitcnt lgkmcnt(0)
	s_barrier
	v_add_u32_e32 v109, 0x1e00, v110
	v_add_u32_e32 v123, 0x2400, v60
	s_mov_b64 s[4:5], 0x2e68
	s_waitcnt vmcnt(1)
	v_pk_mul_f32 v[98:99], v[50:51], v[36:37] op_sel:[0,1]
	v_mov_b32_e32 v100, v39
	v_pk_mul_f32 v[102:103], v[92:93], v[36:37] op_sel:[0,1]
	v_pk_fma_f32 v[104:105], v[50:51], v[36:37], v[98:99] op_sel:[0,0,1] op_sel_hi:[1,1,0] neg_lo:[0,0,1] neg_hi:[0,0,1]
	v_pk_fma_f32 v[50:51], v[50:51], v[36:37], v[98:99] op_sel:[0,0,1] op_sel_hi:[1,0,0]
	v_pk_mul_f32 v[98:99], v[52:53], v[100:101] op_sel_hi:[1,0]
	v_pk_fma_f32 v[106:107], v[92:93], v[36:37], v[102:103] op_sel:[0,0,1] op_sel_hi:[1,1,0] neg_lo:[0,0,1] neg_hi:[0,0,1]
	v_pk_fma_f32 v[92:93], v[92:93], v[36:37], v[102:103] op_sel:[0,0,1] op_sel_hi:[1,0,0]
	v_pk_mul_f32 v[100:101], v[54:55], v[100:101] op_sel_hi:[1,0]
	v_mov_b32_e32 v105, v51
	v_pk_fma_f32 v[50:51], v[52:53], v[38:39], v[98:99] op_sel:[0,0,1] op_sel_hi:[1,1,0] neg_lo:[0,0,1] neg_hi:[0,0,1]
	v_pk_fma_f32 v[52:53], v[52:53], v[38:39], v[98:99] op_sel:[0,0,1] op_sel_hi:[1,0,0]
	v_mov_b32_e32 v107, v93
	v_pk_fma_f32 v[92:93], v[54:55], v[38:39], v[100:101] op_sel:[0,0,1] op_sel_hi:[1,1,0] neg_lo:[0,0,1] neg_hi:[0,0,1]
	v_pk_fma_f32 v[54:55], v[54:55], v[38:39], v[100:101] op_sel:[0,0,1] op_sel_hi:[1,0,0]
	v_mov_b32_e32 v51, v53
	v_pk_add_f32 v[52:53], v[44:45], v[104:105]
	v_mov_b32_e32 v93, v55
	v_pk_add_f32 v[52:53], v[52:53], v[50:51]
	v_pk_add_f32 v[98:99], v[104:105], v[50:51]
	v_pk_add_f32 v[50:51], v[104:105], v[50:51] neg_lo:[0,1] neg_hi:[0,1]
	v_pk_add_f32 v[54:55], v[46:47], v[106:107]
	v_pk_add_f32 v[100:101], v[106:107], v[92:93]
	v_pk_add_f32 v[102:103], v[106:107], v[92:93] neg_lo:[0,1] neg_hi:[0,1]
	v_pk_fma_f32 v[44:45], v[98:99], 0.5, v[44:45] op_sel_hi:[1,0,1] neg_lo:[1,0,0] neg_hi:[1,0,0]
	v_pk_mul_f32 v[50:51], v[50:51], s[14:15] op_sel_hi:[1,0]
	v_pk_add_f32 v[54:55], v[54:55], v[92:93]
	v_pk_fma_f32 v[46:47], v[100:101], 0.5, v[46:47] op_sel_hi:[1,0,1] neg_lo:[1,0,0] neg_hi:[1,0,0]
	v_pk_mul_f32 v[92:93], v[102:103], s[14:15] op_sel_hi:[1,0]
	v_pk_add_f32 v[98:99], v[44:45], v[50:51] op_sel:[0,1] op_sel_hi:[1,0]
	v_pk_add_f32 v[44:45], v[44:45], v[50:51] op_sel:[0,1] op_sel_hi:[1,0] neg_lo:[0,1] neg_hi:[0,1]
	v_pk_add_f32 v[50:51], v[46:47], v[92:93] op_sel:[0,1] op_sel_hi:[1,0] neg_lo:[0,1] neg_hi:[0,1]
	v_pk_add_f32 v[46:47], v[46:47], v[92:93] op_sel:[0,1] op_sel_hi:[1,0]
	v_mov_b32_e32 v92, v98
	v_mov_b32_e32 v93, v45
	;; [unrolled: 1-line block ×6, first 2 shown]
	ds_write2_b64 v60, v[52:53], v[92:93] offset1:165
	ds_write2_b64 v90, v[44:45], v[54:55] offset0:74 offset1:239
	ds_write2_b64 v111, v[98:99], v[50:51] offset0:20 offset1:185
	s_waitcnt vmcnt(0)
	v_pk_mul_f32 v[44:45], v[94:95], v[40:41] op_sel:[0,1]
	v_mov_b32_e32 v46, v43
	v_pk_fma_f32 v[50:51], v[94:95], v[40:41], v[44:45] op_sel:[0,0,1] op_sel_hi:[1,1,0] neg_lo:[0,0,1] neg_hi:[0,0,1]
	v_pk_fma_f32 v[44:45], v[94:95], v[40:41], v[44:45] op_sel:[0,0,1] op_sel_hi:[1,0,0]
	v_pk_mul_f32 v[46:47], v[96:97], v[46:47] op_sel_hi:[1,0]
	v_mov_b32_e32 v51, v45
	v_pk_fma_f32 v[44:45], v[96:97], v[42:43], v[46:47] op_sel:[0,0,1] op_sel_hi:[1,1,0] neg_lo:[0,0,1] neg_hi:[0,0,1]
	v_pk_fma_f32 v[46:47], v[96:97], v[42:43], v[46:47] op_sel:[0,0,1] op_sel_hi:[1,0,0]
	s_nop 0
	v_mov_b32_e32 v45, v47
	v_pk_add_f32 v[46:47], v[48:49], v[50:51]
	v_pk_add_f32 v[52:53], v[50:51], v[44:45]
	v_pk_add_f32 v[50:51], v[50:51], v[44:45] neg_lo:[0,1] neg_hi:[0,1]
	v_pk_add_f32 v[44:45], v[46:47], v[44:45]
	v_pk_fma_f32 v[46:47], v[52:53], 0.5, v[48:49] op_sel_hi:[1,0,1] neg_lo:[1,0,0] neg_hi:[1,0,0]
	v_pk_mul_f32 v[48:49], v[50:51], s[14:15] op_sel_hi:[1,0]
	s_nop 0
	v_pk_add_f32 v[50:51], v[46:47], v[48:49] op_sel:[0,1] op_sel_hi:[1,0] neg_lo:[0,1] neg_hi:[0,1]
	v_pk_add_f32 v[46:47], v[46:47], v[48:49] op_sel:[0,1] op_sel_hi:[1,0]
	v_mov_b32_e32 v49, v51
	v_mov_b32_e32 v48, v46
	;; [unrolled: 1-line block ×3, first 2 shown]
	ds_write2_b64 v109, v[44:45], v[48:49] offset0:30 offset1:195
	ds_write_b64 v110, v[50:51] offset:10560
	v_lshlrev_b32_e32 v44, 4, v56
	s_waitcnt lgkmcnt(0)
	s_barrier
	global_load_dwordx4 v[52:55], v108, s[6:7] offset:3936
	global_load_dwordx4 v[48:51], v44, s[6:7] offset:3936
	v_lshlrev_b32_e32 v44, 4, v58
	global_load_dwordx4 v[44:47], v44, s[6:7] offset:3936
	ds_read2_b64 v[92:95], v90 offset0:74 offset1:239
	ds_read2_b64 v[96:99], v60 offset1:165
	ds_read2_b64 v[100:103], v111 offset0:20 offset1:185
	ds_read2_b64 v[104:107], v91 offset0:30 offset1:195
	ds_read_b64 v[114:115], v60 offset:10560
	s_movk_i32 s6, 0x2000
	v_lshl_add_u64 v[108:109], v[88:89], 0, s[4:5]
	v_add_co_u32_e64 v112, s[4:5], s6, v88
	s_waitcnt vmcnt(2) lgkmcnt(4)
	v_pk_mul_f32 v[116:117], v[94:95], v[52:53] op_sel:[0,1]
	v_mov_b32_e32 v56, v55
	s_waitcnt vmcnt(1) lgkmcnt(2)
	v_pk_mul_f32 v[118:119], v[100:101], v[48:49] op_sel:[0,1]
	v_mov_b32_e32 v58, v51
	s_waitcnt vmcnt(0)
	v_pk_mul_f32 v[120:121], v[102:103], v[44:45] op_sel:[0,1]
	v_mov_b32_e32 v122, v47
	v_pk_fma_f32 v[124:125], v[94:95], v[52:53], v[116:117] op_sel:[0,0,1] op_sel_hi:[1,1,0] neg_lo:[0,0,1] neg_hi:[0,0,1]
	v_pk_fma_f32 v[94:95], v[94:95], v[52:53], v[116:117] op_sel:[0,0,1] op_sel_hi:[1,0,0]
	s_waitcnt lgkmcnt(1)
	v_pk_mul_f32 v[116:117], v[104:105], v[56:57] op_sel_hi:[1,0]
	v_pk_fma_f32 v[126:127], v[100:101], v[48:49], v[118:119] op_sel:[0,0,1] op_sel_hi:[1,1,0] neg_lo:[0,0,1] neg_hi:[0,0,1]
	v_pk_fma_f32 v[100:101], v[100:101], v[48:49], v[118:119] op_sel:[0,0,1] op_sel_hi:[1,0,0]
	v_pk_mul_f32 v[118:119], v[106:107], v[58:59] op_sel_hi:[1,0]
	v_pk_fma_f32 v[128:129], v[102:103], v[44:45], v[120:121] op_sel:[0,0,1] op_sel_hi:[1,1,0] neg_lo:[0,0,1] neg_hi:[0,0,1]
	v_pk_fma_f32 v[102:103], v[102:103], v[44:45], v[120:121] op_sel:[0,0,1] op_sel_hi:[1,0,0]
	s_waitcnt lgkmcnt(0)
	v_pk_mul_f32 v[120:121], v[114:115], v[122:123] op_sel_hi:[1,0]
	v_mov_b32_e32 v125, v95
	v_pk_fma_f32 v[94:95], v[104:105], v[54:55], v[116:117] op_sel:[0,0,1] op_sel_hi:[1,1,0] neg_lo:[0,0,1] neg_hi:[0,0,1]
	v_pk_fma_f32 v[104:105], v[104:105], v[54:55], v[116:117] op_sel:[0,0,1] op_sel_hi:[1,0,0]
	v_mov_b32_e32 v127, v101
	v_pk_fma_f32 v[100:101], v[106:107], v[50:51], v[118:119] op_sel:[0,0,1] op_sel_hi:[1,1,0] neg_lo:[0,0,1] neg_hi:[0,0,1]
	v_pk_fma_f32 v[106:107], v[106:107], v[50:51], v[118:119] op_sel:[0,0,1] op_sel_hi:[1,0,0]
	v_mov_b32_e32 v129, v103
	v_pk_fma_f32 v[102:103], v[114:115], v[46:47], v[120:121] op_sel:[0,0,1] op_sel_hi:[1,1,0] neg_lo:[0,0,1] neg_hi:[0,0,1]
	v_pk_fma_f32 v[114:115], v[114:115], v[46:47], v[120:121] op_sel:[0,0,1] op_sel_hi:[1,0,0]
	v_mov_b32_e32 v95, v105
	v_pk_add_f32 v[104:105], v[96:97], v[124:125]
	v_mov_b32_e32 v101, v107
	v_pk_add_f32 v[106:107], v[98:99], v[126:127]
	;; [unrolled: 2-line block ×3, first 2 shown]
	v_pk_add_f32 v[104:105], v[104:105], v[94:95]
	v_pk_add_f32 v[116:117], v[124:125], v[94:95]
	v_pk_add_f32 v[94:95], v[124:125], v[94:95] neg_lo:[0,1] neg_hi:[0,1]
	v_pk_add_f32 v[106:107], v[106:107], v[100:101]
	v_pk_add_f32 v[114:115], v[114:115], v[102:103]
	;; [unrolled: 1-line block ×3, first 2 shown]
	v_pk_add_f32 v[100:101], v[126:127], v[100:101] neg_lo:[0,1] neg_hi:[0,1]
	v_pk_add_f32 v[120:121], v[128:129], v[102:103]
	v_pk_add_f32 v[102:103], v[128:129], v[102:103] neg_lo:[0,1] neg_hi:[0,1]
	v_pk_fma_f32 v[96:97], v[116:117], 0.5, v[96:97] op_sel_hi:[1,0,1] neg_lo:[1,0,0] neg_hi:[1,0,0]
	v_pk_mul_f32 v[94:95], v[94:95], s[14:15] op_sel_hi:[1,0]
	v_addc_co_u32_e64 v113, s[4:5], 0, v89, s[4:5]
	v_pk_fma_f32 v[98:99], v[118:119], 0.5, v[98:99] op_sel_hi:[1,0,1] neg_lo:[1,0,0] neg_hi:[1,0,0]
	v_pk_mul_f32 v[100:101], v[100:101], s[14:15] op_sel_hi:[1,0]
	v_pk_fma_f32 v[92:93], v[120:121], 0.5, v[92:93] op_sel_hi:[1,0,1] neg_lo:[1,0,0] neg_hi:[1,0,0]
	v_pk_mul_f32 v[102:103], v[102:103], s[14:15] op_sel_hi:[1,0]
	v_pk_add_f32 v[116:117], v[96:97], v[94:95] op_sel:[0,1] op_sel_hi:[1,0]
	v_pk_add_f32 v[94:95], v[96:97], v[94:95] op_sel:[0,1] op_sel_hi:[1,0] neg_lo:[0,1] neg_hi:[0,1]
	v_pk_add_f32 v[96:97], v[98:99], v[100:101] op_sel:[0,1] op_sel_hi:[1,0]
	v_pk_add_f32 v[98:99], v[98:99], v[100:101] op_sel:[0,1] op_sel_hi:[1,0] neg_lo:[0,1] neg_hi:[0,1]
	;; [unrolled: 2-line block ×3, first 2 shown]
	v_mov_b32_e32 v102, v116
	v_mov_b32_e32 v103, v95
	s_movk_i32 s4, 0x5000
	v_mov_b32_e32 v95, v117
	v_mov_b32_e32 v116, v96
	;; [unrolled: 1-line block ×7, first 2 shown]
	ds_write_b64 v60, v[102:103] offset:3960
	ds_write_b64 v60, v[94:95] offset:7920
	ds_write2_b64 v60, v[104:105], v[106:107] offset1:165
	ds_write_b64 v60, v[114:115] offset:2640
	ds_write2_b64 v111, v[116:117], v[96:97] offset0:20 offset1:185
	ds_write2_b64 v123, v[98:99], v[92:93] offset0:3 offset1:168
	v_add_co_u32_e64 v92, s[4:5], s4, v88
	s_waitcnt lgkmcnt(0)
	s_barrier
	global_load_dwordx2 v[96:97], v[112:113], off offset:3688
	global_load_dwordx2 v[98:99], v[108:109], off offset:1320
	v_addc_co_u32_e64 v93, s[4:5], 0, v89, s[4:5]
	global_load_dwordx2 v[100:101], v[92:93], off offset:1960
	global_load_dwordx2 v[104:105], v[108:109], off offset:3960
	s_movk_i32 s4, 0x4000
	v_add_co_u32_e64 v88, s[4:5], s4, v88
	v_add_u32_e32 v56, 0xe00, v60
	s_nop 0
	v_addc_co_u32_e64 v89, s[4:5], 0, v89, s[4:5]
	global_load_dwordx2 v[106:107], v[88:89], off offset:3416
	global_load_dwordx2 v[112:113], v[88:89], off offset:776
	;; [unrolled: 1-line block ×5, first 2 shown]
	ds_read2_b64 v[92:95], v60 offset1:165
	ds_read_b64 v[88:89], v60 offset:10560
	v_add_u32_e32 v58, 0x400, v60
	v_add_u32_e32 v122, 0x1800, v60
	s_waitcnt vmcnt(8) lgkmcnt(1)
	v_mul_f32_e32 v102, v93, v97
	v_mul_f32_e32 v103, v92, v97
	v_fma_f32 v102, v92, v96, -v102
	v_fmac_f32_e32 v103, v93, v96
	s_waitcnt vmcnt(7)
	v_mul_f32_e32 v97, v95, v99
	v_mul_f32_e32 v109, v94, v99
	s_waitcnt vmcnt(6) lgkmcnt(0)
	v_mul_f32_e32 v99, v89, v101
	v_mul_f32_e32 v121, v88, v101
	ds_write_b64 v60, v[102:103]
	v_fma_f32 v108, v94, v98, -v97
	v_fmac_f32_e32 v109, v95, v98
	ds_read2_b64 v[92:95], v90 offset0:74 offset1:239
	v_fma_f32 v120, v88, v100, -v99
	ds_read2_b64 v[96:99], v91 offset0:30 offset1:195
	v_fmac_f32_e32 v121, v89, v100
	ds_read2_b64 v[100:103], v111 offset0:20 offset1:185
	s_waitcnt vmcnt(5) lgkmcnt(2)
	v_mul_f32_e32 v88, v95, v105
	v_mul_f32_e32 v89, v94, v105
	s_waitcnt vmcnt(4) lgkmcnt(1)
	v_mul_f32_e32 v124, v97, v107
	v_mul_f32_e32 v105, v96, v107
	;; [unrolled: 3-line block ×3, first 2 shown]
	s_waitcnt vmcnt(2)
	v_mul_f32_e32 v126, v99, v115
	v_mul_f32_e32 v113, v98, v115
	s_waitcnt vmcnt(1)
	v_mul_f32_e32 v127, v93, v117
	v_mul_f32_e32 v115, v92, v117
	;; [unrolled: 3-line block ×3, first 2 shown]
	v_fma_f32 v88, v94, v104, -v88
	v_fmac_f32_e32 v89, v95, v104
	v_fma_f32 v104, v96, v106, -v124
	v_fmac_f32_e32 v105, v97, v106
	;; [unrolled: 2-line block ×6, first 2 shown]
	ds_write2_b64 v56, v[88:89], v[106:107] offset0:47 offset1:212
	ds_write2_b64 v58, v[108:109], v[114:115] offset0:37 offset1:202
	;; [unrolled: 1-line block ×4, first 2 shown]
	s_waitcnt lgkmcnt(0)
	s_barrier
	ds_read2_b64 v[94:97], v60 offset1:165
	ds_read2_b64 v[98:101], v111 offset0:20 offset1:185
	ds_read2_b64 v[102:105], v91 offset0:30 offset1:195
	ds_read2_b64 v[106:109], v90 offset0:74 offset1:239
	ds_read_b64 v[88:89], v60 offset:10560
	s_waitcnt lgkmcnt(0)
	s_barrier
	v_pk_add_f32 v[90:91], v[98:99], v[104:105]
	v_pk_add_f32 v[92:93], v[98:99], v[104:105] neg_lo:[0,1] neg_hi:[0,1]
	v_pk_add_f32 v[112:113], v[106:107], v[100:101]
	v_pk_add_f32 v[114:115], v[100:101], v[88:89]
	v_pk_add_f32 v[100:101], v[100:101], v[88:89] neg_lo:[0,1] neg_hi:[0,1]
	v_pk_add_f32 v[116:117], v[94:95], v[108:109]
	v_pk_add_f32 v[118:119], v[108:109], v[102:103]
	v_pk_fma_f32 v[90:91], v[90:91], 0.5, v[96:97] op_sel_hi:[1,0,1] neg_lo:[1,0,0] neg_hi:[1,0,0]
	v_pk_mul_f32 v[120:121], v[92:93], s[14:15] op_sel_hi:[1,0]
	v_pk_add_f32 v[92:93], v[112:113], v[88:89]
	v_pk_fma_f32 v[88:89], v[114:115], 0.5, v[106:107] op_sel_hi:[1,0,1] neg_lo:[1,0,0] neg_hi:[1,0,0]
	v_pk_add_f32 v[106:107], v[116:117], v[102:103]
	v_pk_fma_f32 v[112:113], v[118:119], 0.5, v[94:95] op_sel_hi:[1,0,1] neg_lo:[1,0,0] neg_hi:[1,0,0]
	v_pk_add_f32 v[114:115], v[90:91], v[120:121] op_sel:[0,1] op_sel_hi:[1,0]
	v_pk_add_f32 v[116:117], v[90:91], v[120:121] op_sel:[0,1] op_sel_hi:[1,0] neg_lo:[0,1] neg_hi:[0,1]
	v_pk_fma_f32 v[90:91], v[100:101], s[14:15], v[88:89] op_sel:[0,0,1] op_sel_hi:[1,0,0]
	v_pk_fma_f32 v[94:95], v[100:101], s[14:15], v[88:89] op_sel:[0,0,1] op_sel_hi:[1,0,0] neg_lo:[1,0,0] neg_hi:[1,0,0]
	v_pk_add_f32 v[100:101], v[108:109], v[102:103] neg_lo:[0,1] neg_hi:[0,1]
	s_nop 0
	v_pk_mul_f32 v[100:101], v[100:101], s[14:15] op_sel_hi:[1,0]
	v_mov_b32_e32 v89, v117
	v_pk_add_f32 v[102:103], v[112:113], v[100:101] op_sel:[0,1] op_sel_hi:[1,0] neg_lo:[0,1] neg_hi:[0,1]
	v_pk_add_f32 v[100:101], v[112:113], v[100:101] op_sel:[0,1] op_sel_hi:[1,0]
	v_mov_b32_e32 v108, v102
	v_mov_b32_e32 v109, v101
	v_mov_b32_e32 v101, v103
	ds_write2_b64 v57, v[106:107], v[108:109] offset1:1
	ds_write_b64 v57, v[100:101] offset:16
	v_pk_add_f32 v[56:57], v[96:97], v[98:99]
	v_mov_b32_e32 v117, v115
	v_pk_add_f32 v[56:57], v[56:57], v[104:105]
	v_mov_b32_e32 v88, v114
	ds_write2_b64 v59, v[56:57], v[116:117] offset1:1
	ds_write_b64 v59, v[88:89] offset:16
	v_mov_b32_e32 v56, v95
	v_mov_b32_e32 v57, v90
	ds_write2_b64 v61, v[92:93], v[56:57] offset1:1
	v_mov_b32_e32 v56, v91
	v_mov_b32_e32 v57, v94
	ds_write_b64 v61, v[56:57] offset:16
	s_waitcnt lgkmcnt(0)
	s_barrier
	ds_read_b64 v[56:57], v60
	ds_read_b64 v[100:101], v60 offset:2376
	ds_read_b64 v[98:99], v60 offset:4752
	;; [unrolled: 1-line block ×4, first 2 shown]
	s_and_saveexec_b64 s[4:5], s[0:1]
	s_xor_b64 s[0:1], exec, s[4:5]
	s_or_saveexec_b64 s[0:1], s[0:1]
	v_mov_b32_e32 v106, v10
	v_mov_b32_e32 v107, v10
	;; [unrolled: 1-line block ×12, first 2 shown]
	s_xor_b64 exec, exec, s[0:1]
	s_cbranch_execz .LBB0_11
; %bb.10:
	ds_read_b64 v[112:113], v60 offset:6072
	ds_read_b64 v[94:95], v60 offset:8448
	;; [unrolled: 1-line block ×5, first 2 shown]
	s_waitcnt lgkmcnt(4)
	v_mov_b32_e32 v90, v113
	s_waitcnt lgkmcnt(3)
	v_mov_b32_e32 v91, v94
	v_mov_b32_e32 v94, v95
	;; [unrolled: 1-line block ×3, first 2 shown]
.LBB0_11:
	s_or_b64 exec, exec, s[0:1]
	s_waitcnt lgkmcnt(3)
	v_pk_mul_f32 v[8:9], v[8:9], v[100:101]
	s_waitcnt lgkmcnt(2)
	v_pk_mul_f32 v[10:11], v[10:11], v[98:99]
	v_pk_fma_f32 v[120:121], v[108:109], v[100:101], v[8:9] op_sel:[0,0,1] op_sel_hi:[1,1,0]
	v_pk_fma_f32 v[8:9], v[108:109], v[100:101], v[8:9] op_sel:[0,0,1] op_sel_hi:[1,1,0] neg_lo:[0,0,1] neg_hi:[0,0,1]
	s_waitcnt lgkmcnt(1)
	v_pk_mul_f32 v[12:13], v[12:13], v[96:97]
	v_mov_b32_e32 v121, v9
	v_pk_fma_f32 v[100:101], v[106:107], v[98:99], v[10:11] op_sel:[0,0,1] op_sel_hi:[1,1,0]
	v_pk_fma_f32 v[8:9], v[106:107], v[98:99], v[10:11] op_sel:[0,0,1] op_sel_hi:[1,1,0] neg_lo:[0,0,1] neg_hi:[0,0,1]
	s_waitcnt lgkmcnt(0)
	v_pk_mul_f32 v[14:15], v[14:15], v[58:59]
	v_mov_b32_e32 v101, v9
	v_pk_fma_f32 v[98:99], v[104:105], v[96:97], v[12:13] op_sel:[0,0,1] op_sel_hi:[1,1,0]
	v_pk_fma_f32 v[8:9], v[104:105], v[96:97], v[12:13] op_sel:[0,0,1] op_sel_hi:[1,1,0] neg_lo:[0,0,1] neg_hi:[0,0,1]
	v_pk_fma_f32 v[96:97], v[102:103], v[58:59], v[14:15] op_sel:[0,0,1] op_sel_hi:[1,1,0]
	v_mov_b32_e32 v99, v9
	v_pk_fma_f32 v[8:9], v[102:103], v[58:59], v[14:15] op_sel:[0,0,1] op_sel_hi:[1,1,0] neg_lo:[0,0,1] neg_hi:[0,0,1]
	s_mov_b32 s0, 0x3f737871
	v_mov_b32_e32 v97, v9
	v_pk_add_f32 v[8:9], v[100:101], v[98:99]
	v_pk_add_f32 v[14:15], v[120:121], v[96:97] neg_lo:[0,1] neg_hi:[0,1]
	v_pk_fma_f32 v[10:11], v[8:9], 0.5, v[56:57] op_sel_hi:[1,0,1] neg_lo:[1,0,0] neg_hi:[1,0,0]
	v_pk_add_f32 v[58:59], v[100:101], v[98:99] neg_lo:[0,1] neg_hi:[0,1]
	s_mov_b32 s4, 0x3f167918
	v_pk_add_f32 v[8:9], v[120:121], v[100:101] neg_lo:[0,1] neg_hi:[0,1]
	v_pk_add_f32 v[12:13], v[96:97], v[98:99] neg_lo:[0,1] neg_hi:[0,1]
	v_pk_fma_f32 v[102:103], v[14:15], s[0:1], v[10:11] op_sel:[1,0,0] op_sel_hi:[0,0,1] neg_lo:[1,0,0] neg_hi:[1,0,0]
	v_pk_fma_f32 v[10:11], v[14:15], s[0:1], v[10:11] op_sel:[1,0,0] op_sel_hi:[0,0,1]
	v_pk_add_f32 v[12:13], v[8:9], v[12:13]
	v_pk_add_f32 v[8:9], v[56:57], v[120:121]
	v_pk_fma_f32 v[104:105], v[58:59], s[4:5], v[10:11] op_sel:[1,0,0] op_sel_hi:[0,0,1]
	v_pk_fma_f32 v[102:103], v[58:59], s[4:5], v[102:103] op_sel:[1,0,0] op_sel_hi:[0,0,1] neg_lo:[1,0,0] neg_hi:[1,0,0]
	v_pk_add_f32 v[8:9], v[8:9], v[100:101]
	v_mov_b32_e32 v10, v102
	v_mov_b32_e32 v11, v105
	;; [unrolled: 1-line block ×3, first 2 shown]
	v_pk_add_f32 v[102:103], v[120:121], v[96:97]
	v_pk_add_f32 v[8:9], v[8:9], v[98:99]
	v_pk_fma_f32 v[56:57], v[102:103], 0.5, v[56:57] op_sel_hi:[1,0,1] neg_lo:[1,0,0] neg_hi:[1,0,0]
	v_pk_add_f32 v[8:9], v[8:9], v[96:97]
	v_pk_add_f32 v[96:97], v[98:99], v[96:97] neg_lo:[0,1] neg_hi:[0,1]
	v_pk_fma_f32 v[98:99], v[58:59], s[0:1], v[56:57] op_sel:[1,0,0] op_sel_hi:[0,0,1]
	v_pk_fma_f32 v[56:57], v[58:59], s[0:1], v[56:57] op_sel:[1,0,0] op_sel_hi:[0,0,1] neg_lo:[1,0,0] neg_hi:[1,0,0]
	v_pk_add_f32 v[100:101], v[100:101], v[120:121] neg_lo:[0,1] neg_hi:[0,1]
	v_pk_fma_f32 v[58:59], v[14:15], s[4:5], v[56:57] op_sel:[1,0,0] op_sel_hi:[0,0,1]
	v_pk_fma_f32 v[14:15], v[14:15], s[4:5], v[98:99] op_sel:[1,0,0] op_sel_hi:[0,0,1] neg_lo:[1,0,0] neg_hi:[1,0,0]
	v_pk_mul_f32 v[112:113], v[4:5], v[92:93] op_sel:[0,1]
	s_mov_b32 s6, 0x3e9e377a
	v_pk_add_f32 v[96:97], v[100:101], v[96:97]
	v_mov_b32_e32 v56, v14
	v_mov_b32_e32 v57, v59
	;; [unrolled: 1-line block ×3, first 2 shown]
	v_pk_mul_f32 v[114:115], v[6:7], v[90:91] op_sel_hi:[1,0]
	v_pk_mul_f32 v[116:117], v[0:1], v[94:95] op_sel_hi:[1,0]
	v_pk_fma_f32 v[56:57], v[96:97], s[6:7], v[56:57] op_sel_hi:[1,0,1]
	v_pk_fma_f32 v[58:59], v[96:97], s[6:7], v[58:59] op_sel_hi:[1,0,1]
	v_pk_fma_f32 v[96:97], v[4:5], v[92:93], v[112:113] op_sel:[0,0,1] op_sel_hi:[1,1,0]
	v_pk_fma_f32 v[4:5], v[4:5], v[92:93], v[112:113] op_sel:[0,0,1] op_sel_hi:[1,0,0] neg_lo:[1,0,0] neg_hi:[1,0,0]
	v_pk_mul_f32 v[118:119], v[2:3], v[86:87] op_sel:[0,1]
	v_mov_b32_e32 v97, v5
	v_pk_fma_f32 v[4:5], v[6:7], v[94:95], v[114:115] op_sel:[0,1,1] op_sel_hi:[1,1,0]
	v_pk_fma_f32 v[6:7], v[6:7], v[94:95], v[114:115] op_sel:[0,1,1] op_sel_hi:[1,1,0] neg_lo:[1,0,0] neg_hi:[1,0,0]
	v_pk_fma_f32 v[92:93], v[0:1], v[90:91], v[116:117] op_sel:[0,1,1] op_sel_hi:[1,1,0]
	v_pk_fma_f32 v[0:1], v[0:1], v[90:91], v[116:117] op_sel:[0,1,1] op_sel_hi:[1,1,0] neg_lo:[1,0,0] neg_hi:[1,0,0]
	v_mov_b32_e32 v5, v7
	v_mov_b32_e32 v93, v1
	v_pk_fma_f32 v[90:91], v[2:3], v[86:87], v[118:119] op_sel:[0,0,1] op_sel_hi:[1,1,0]
	v_pk_fma_f32 v[0:1], v[2:3], v[86:87], v[118:119] op_sel:[0,0,1] op_sel_hi:[1,0,0] neg_lo:[1,0,0] neg_hi:[1,0,0]
	v_pk_add_f32 v[86:87], v[4:5], v[92:93] neg_lo:[0,1] neg_hi:[0,1]
	v_mov_b32_e32 v91, v1
	v_pk_add_f32 v[0:1], v[4:5], v[92:93]
	v_pk_add_f32 v[2:3], v[96:97], v[90:91] neg_lo:[0,1] neg_hi:[0,1]
	v_pk_fma_f32 v[0:1], v[0:1], 0.5, v[88:89] op_sel_hi:[1,0,1] neg_lo:[1,0,0] neg_hi:[1,0,0]
	v_pk_add_f32 v[14:15], v[96:97], v[4:5] neg_lo:[0,1] neg_hi:[0,1]
	v_pk_fma_f32 v[6:7], v[2:3], s[0:1], v[0:1] op_sel:[1,0,0] op_sel_hi:[0,0,1] neg_lo:[1,0,0] neg_hi:[1,0,0]
	v_pk_fma_f32 v[0:1], v[2:3], s[0:1], v[0:1] op_sel:[1,0,0] op_sel_hi:[0,0,1]
	v_pk_fma_f32 v[94:95], v[86:87], s[4:5], v[0:1] op_sel:[1,0,0] op_sel_hi:[0,0,1]
	v_pk_fma_f32 v[6:7], v[86:87], s[4:5], v[6:7] op_sel:[1,0,0] op_sel_hi:[0,0,1] neg_lo:[1,0,0] neg_hi:[1,0,0]
	v_pk_add_f32 v[98:99], v[90:91], v[92:93] neg_lo:[0,1] neg_hi:[0,1]
	v_mov_b32_e32 v1, v95
	v_pk_add_f32 v[98:99], v[14:15], v[98:99]
	v_mov_b32_e32 v95, v7
	v_mov_b32_e32 v0, v6
	v_pk_add_f32 v[14:15], v[96:97], v[88:89]
	v_pk_fma_f32 v[6:7], v[98:99], s[6:7], v[94:95] op_sel_hi:[1,0,1]
	v_pk_add_f32 v[94:95], v[96:97], v[90:91]
	v_pk_add_f32 v[14:15], v[4:5], v[14:15]
	v_pk_fma_f32 v[88:89], v[94:95], 0.5, v[88:89] op_sel_hi:[1,0,1] neg_lo:[1,0,0] neg_hi:[1,0,0]
	v_pk_add_f32 v[14:15], v[92:93], v[14:15]
	v_pk_fma_f32 v[94:95], v[86:87], s[0:1], v[88:89] op_sel:[1,0,0] op_sel_hi:[0,0,1]
	v_pk_fma_f32 v[86:87], v[86:87], s[0:1], v[88:89] op_sel:[1,0,0] op_sel_hi:[0,0,1] neg_lo:[1,0,0] neg_hi:[1,0,0]
	v_pk_add_f32 v[14:15], v[90:91], v[14:15]
	v_pk_fma_f32 v[86:87], v[2:3], s[4:5], v[86:87] op_sel:[1,0,0] op_sel_hi:[0,0,1]
	v_pk_fma_f32 v[88:89], v[2:3], s[4:5], v[94:95] op_sel:[1,0,0] op_sel_hi:[0,0,1] neg_lo:[1,0,0] neg_hi:[1,0,0]
	v_pk_add_f32 v[4:5], v[4:5], v[96:97] neg_lo:[0,1] neg_hi:[0,1]
	v_pk_add_f32 v[90:91], v[92:93], v[90:91] neg_lo:[0,1] neg_hi:[0,1]
	v_mov_b32_e32 v2, v88
	v_mov_b32_e32 v3, v87
	v_pk_add_f32 v[4:5], v[4:5], v[90:91]
	v_mov_b32_e32 v87, v89
	v_pk_fma_f32 v[10:11], v[12:13], s[6:7], v[10:11] op_sel_hi:[1,0,1]
	v_pk_fma_f32 v[12:13], v[12:13], s[6:7], v[104:105] op_sel_hi:[1,0,1]
	;; [unrolled: 1-line block ×5, first 2 shown]
	s_barrier
	ds_write2_b64 v153, v[8:9], v[10:11] offset1:3
	ds_write2_b64 v153, v[56:57], v[58:59] offset0:6 offset1:9
	ds_write_b64 v153, v[12:13] offset:96
	s_and_saveexec_b64 s[0:1], vcc
	s_cbranch_execz .LBB0_13
; %bb.12:
	v_lshlrev_b32_e32 v61, 3, v152
	ds_write2_b64 v61, v[14:15], v[0:1] offset1:3
	ds_write2_b64 v61, v[2:3], v[4:5] offset0:6 offset1:9
	ds_write_b64 v61, v[6:7] offset:96
.LBB0_13:
	s_or_b64 exec, exec, s[0:1]
	s_waitcnt lgkmcnt(0)
	s_barrier
	s_and_saveexec_b64 s[0:1], s[2:3]
	s_cbranch_execz .LBB0_15
; %bb.14:
	v_add_u32_e32 v0, 0x800, v60
	ds_read2_b64 v[56:59], v0 offset0:14 offset1:149
	v_add_u32_e32 v0, 0x1000, v60
	ds_read2_b64 v[12:15], v0 offset0:28 offset1:163
	v_add_u32_e32 v0, 0x1800, v60
	v_add_u32_e32 v4, 0x2000, v60
	ds_read2_b64 v[8:11], v60 offset1:135
	ds_read2_b64 v[0:3], v0 offset0:42 offset1:177
	ds_read2_b64 v[4:7], v4 offset0:56 offset1:191
	ds_read_b64 v[84:85], v60 offset:10800
.LBB0_15:
	s_or_b64 exec, exec, s[0:1]
	v_mov_b32_e32 v100, v36
	v_mov_b32_e32 v101, v36
	;; [unrolled: 1-line block ×30, first 2 shown]
	s_waitcnt lgkmcnt(0)
	s_barrier
	s_and_saveexec_b64 s[0:1], s[2:3]
	s_cbranch_execz .LBB0_17
; %bb.16:
	v_pk_mul_f32 v[106:107], v[34:35], v[84:85] op_sel:[0,1]
	v_pk_mul_f32 v[114:115], v[18:19], v[56:57] op_sel_hi:[1,0]
	v_pk_fma_f32 v[128:129], v[34:35], v[84:85], v[106:107] op_sel:[0,0,1] op_sel_hi:[1,1,0]
	v_pk_fma_f32 v[34:35], v[34:35], v[84:85], v[106:107] op_sel:[0,0,1] op_sel_hi:[1,0,0] neg_lo:[1,0,0] neg_hi:[1,0,0]
	v_pk_mul_f32 v[112:113], v[32:33], v[6:7] op_sel:[0,1]
	v_mov_b32_e32 v129, v35
	v_pk_fma_f32 v[34:35], v[18:19], v[56:57], v[114:115] op_sel:[1,1,0] op_sel_hi:[0,1,1]
	v_pk_fma_f32 v[18:19], v[18:19], v[56:57], v[114:115] op_sel:[1,1,0] op_sel_hi:[0,1,1] neg_lo:[0,0,1] neg_hi:[0,0,1]
	v_pk_mul_f32 v[118:119], v[28:29], v[58:59] op_sel:[0,1]
	v_mov_b32_e32 v35, v19
	;; [unrolled: 4-line block ×8, first 2 shown]
	v_pk_fma_f32 v[14:15], v[22:23], v[0:1], v[124:125] op_sel:[0,0,1] op_sel_hi:[1,1,0]
	v_pk_fma_f32 v[0:1], v[22:23], v[0:1], v[124:125] op_sel:[0,0,1] op_sel_hi:[1,0,0] neg_lo:[1,0,0] neg_hi:[1,0,0]
	s_mov_b32 s18, 0xbf0a6770
	v_mov_b32_e32 v15, v1
	v_pk_fma_f32 v[0:1], v[16:17], v[10:11], v[108:109] op_sel:[0,0,1] op_sel_hi:[1,1,0]
	v_pk_fma_f32 v[10:11], v[16:17], v[10:11], v[108:109] op_sel:[0,0,1] op_sel_hi:[1,0,0] neg_lo:[1,0,0] neg_hi:[1,0,0]
	v_pk_add_f32 v[22:23], v[34:35], v[18:19] neg_lo:[0,1] neg_hi:[0,1]
	v_mov_b32_e32 v1, v11
	v_pk_add_f32 v[16:17], v[0:1], v[128:129] neg_lo:[0,1] neg_hi:[0,1]
	v_pk_add_f32 v[10:11], v[128:129], v[0:1]
	s_mov_b32 s4, 0x3f575c64
	v_pk_mul_f32 v[84:85], v[16:17], s[18:19] op_sel_hi:[1,0]
	s_mov_b32 s26, 0xbf68dda4
	v_pk_add_f32 v[20:21], v[18:19], v[34:35]
	v_pk_fma_f32 v[106:107], v[10:11], s[4:5], v[84:85] op_sel:[0,0,1] op_sel_hi:[1,0,0]
	v_pk_fma_f32 v[84:85], v[10:11], s[4:5], v[84:85] op_sel:[0,0,1] op_sel_hi:[1,0,0] neg_lo:[0,0,1] neg_hi:[0,0,1]
	s_mov_b32 s2, 0x3ed4b147
	v_pk_mul_f32 v[112:113], v[22:23], s[26:27] op_sel_hi:[1,0]
	v_mov_b32_e32 v108, v106
	v_mov_b32_e32 v109, v85
	v_pk_fma_f32 v[114:115], v[20:21], s[2:3], v[112:113] op_sel:[0,0,1] op_sel_hi:[1,0,0]
	v_pk_fma_f32 v[112:113], v[20:21], s[2:3], v[112:113] op_sel:[0,0,1] op_sel_hi:[1,0,0] neg_lo:[0,0,1] neg_hi:[0,0,1]
	v_pk_add_f32 v[26:27], v[6:7], v[28:29] neg_lo:[0,1] neg_hi:[0,1]
	v_pk_add_f32 v[108:109], v[8:9], v[108:109]
	v_mov_b32_e32 v116, v114
	v_mov_b32_e32 v117, v113
	s_mov_b32 s14, 0xbf7d64f0
	v_pk_add_f32 v[24:25], v[28:29], v[6:7]
	v_pk_add_f32 v[108:109], v[116:117], v[108:109]
	s_mov_b32 s6, 0xbe11bafb
	v_pk_mul_f32 v[116:117], v[26:27], s[14:15] op_sel_hi:[1,0]
	v_pk_add_f32 v[0:1], v[8:9], v[0:1]
	v_pk_fma_f32 v[118:119], v[24:25], s[6:7], v[116:117] op_sel:[0,0,1] op_sel_hi:[1,0,0]
	v_pk_fma_f32 v[116:117], v[24:25], s[6:7], v[116:117] op_sel:[0,0,1] op_sel_hi:[1,0,0] neg_lo:[0,0,1] neg_hi:[0,0,1]
	v_pk_add_f32 v[0:1], v[34:35], v[0:1]
	v_pk_add_f32 v[32:33], v[4:5], v[12:13] neg_lo:[0,1] neg_hi:[0,1]
	v_mov_b32_e32 v120, v118
	v_mov_b32_e32 v121, v117
	s_mov_b32 s20, 0xbf4178ce
	v_pk_add_f32 v[0:1], v[6:7], v[0:1]
	v_pk_add_f32 v[30:31], v[12:13], v[4:5]
	;; [unrolled: 1-line block ×3, first 2 shown]
	s_mov_b32 s16, 0xbf27a4f4
	v_pk_mul_f32 v[120:121], v[32:33], s[20:21] op_sel_hi:[1,0]
	v_pk_add_f32 v[0:1], v[4:5], v[0:1]
	v_pk_fma_f32 v[122:123], v[30:31], s[16:17], v[120:121] op_sel:[0,0,1] op_sel_hi:[1,0,0]
	v_pk_fma_f32 v[120:121], v[30:31], s[16:17], v[120:121] op_sel:[0,0,1] op_sel_hi:[1,0,0] neg_lo:[0,0,1] neg_hi:[0,0,1]
	v_pk_add_f32 v[0:1], v[2:3], v[0:1]
	v_pk_add_f32 v[58:59], v[2:3], v[14:15] neg_lo:[0,1] neg_hi:[0,1]
	v_mov_b32_e32 v124, v122
	v_mov_b32_e32 v125, v121
	s_mov_b32 s24, 0xbe903f40
	v_pk_add_f32 v[0:1], v[14:15], v[0:1]
	v_pk_add_f32 v[56:57], v[14:15], v[2:3]
	;; [unrolled: 1-line block ×3, first 2 shown]
	s_mov_b32 s22, 0xbf75a155
	v_pk_mul_f32 v[124:125], v[58:59], s[24:25] op_sel_hi:[1,0]
	v_pk_add_f32 v[0:1], v[12:13], v[0:1]
	v_pk_fma_f32 v[126:127], v[56:57], s[22:23], v[124:125] op_sel:[0,0,1] op_sel_hi:[1,0,0]
	v_pk_fma_f32 v[124:125], v[56:57], s[22:23], v[124:125] op_sel:[0,0,1] op_sel_hi:[1,0,0] neg_lo:[0,0,1] neg_hi:[0,0,1]
	v_pk_add_f32 v[0:1], v[28:29], v[0:1]
	v_mul_u32_u24_e32 v61, 0xa5, v63
	v_mov_b32_e32 v130, v126
	v_mov_b32_e32 v131, v125
	v_pk_add_f32 v[0:1], v[18:19], v[0:1]
	v_add_lshl_u32 v61, v61, v73, 3
	v_pk_add_f32 v[108:109], v[130:131], v[108:109]
	v_pk_add_f32 v[0:1], v[128:129], v[0:1]
	ds_write2_b64 v61, v[0:1], v[108:109] offset1:15
	v_pk_mul_f32 v[0:1], v[16:17], s[26:27] op_sel_hi:[1,0]
	v_pk_mul_f32 v[6:7], v[22:23], s[20:21] op_sel_hi:[1,0]
	v_pk_fma_f32 v[2:3], v[10:11], s[2:3], v[0:1] op_sel:[0,0,1] op_sel_hi:[1,0,0]
	v_pk_fma_f32 v[0:1], v[10:11], s[2:3], v[0:1] op_sel:[0,0,1] op_sel_hi:[1,0,0] neg_lo:[0,0,1] neg_hi:[0,0,1]
	v_mov_b32_e32 v4, v2
	v_mov_b32_e32 v5, v1
	v_pk_fma_f32 v[12:13], v[20:21], s[16:17], v[6:7] op_sel:[0,0,1] op_sel_hi:[1,0,0]
	v_pk_fma_f32 v[6:7], v[20:21], s[16:17], v[6:7] op_sel:[0,0,1] op_sel_hi:[1,0,0] neg_lo:[0,0,1] neg_hi:[0,0,1]
	v_pk_add_f32 v[4:5], v[8:9], v[4:5]
	v_mov_b32_e32 v14, v12
	v_mov_b32_e32 v15, v7
	s_mov_b32 s26, 0x3e903f40
	v_pk_add_f32 v[4:5], v[14:15], v[4:5]
	v_pk_mul_f32 v[14:15], v[26:27], s[26:27] op_sel_hi:[1,0]
	s_mov_b32 s28, 0x3f7d64f0
	v_pk_fma_f32 v[18:19], v[24:25], s[22:23], v[14:15] op_sel:[0,0,1] op_sel_hi:[1,0,0]
	v_pk_fma_f32 v[14:15], v[24:25], s[22:23], v[14:15] op_sel:[0,0,1] op_sel_hi:[1,0,0] neg_lo:[0,0,1] neg_hi:[0,0,1]
	v_mov_b32_e32 v28, v18
	v_mov_b32_e32 v29, v15
	v_pk_add_f32 v[4:5], v[28:29], v[4:5]
	v_pk_mul_f32 v[28:29], v[32:33], s[28:29] op_sel_hi:[1,0]
	s_mov_b32 s30, 0x3f0a6770
	v_pk_fma_f32 v[34:35], v[30:31], s[6:7], v[28:29] op_sel:[0,0,1] op_sel_hi:[1,0,0]
	v_pk_fma_f32 v[28:29], v[30:31], s[6:7], v[28:29] op_sel:[0,0,1] op_sel_hi:[1,0,0] neg_lo:[0,0,1] neg_hi:[0,0,1]
	v_mov_b32_e32 v108, v34
	v_mov_b32_e32 v109, v29
	v_pk_add_f32 v[4:5], v[108:109], v[4:5]
	v_pk_mul_f32 v[108:109], v[58:59], s[30:31] op_sel_hi:[1,0]
	v_pk_mul_f32 v[136:137], v[22:23], s[26:27] op_sel_hi:[1,0]
	v_pk_fma_f32 v[128:129], v[56:57], s[4:5], v[108:109] op_sel:[0,0,1] op_sel_hi:[1,0,0]
	v_pk_fma_f32 v[108:109], v[56:57], s[4:5], v[108:109] op_sel:[0,0,1] op_sel_hi:[1,0,0] neg_lo:[0,0,1] neg_hi:[0,0,1]
	v_mov_b32_e32 v130, v128
	v_mov_b32_e32 v131, v109
	v_pk_add_f32 v[4:5], v[130:131], v[4:5]
	v_pk_mul_f32 v[130:131], v[16:17], s[14:15] op_sel_hi:[1,0]
	v_pk_fma_f32 v[138:139], v[20:21], s[22:23], v[136:137] op_sel:[0,0,1] op_sel_hi:[1,0,0]
	v_pk_fma_f32 v[132:133], v[10:11], s[6:7], v[130:131] op_sel:[0,0,1] op_sel_hi:[1,0,0]
	v_pk_fma_f32 v[130:131], v[10:11], s[6:7], v[130:131] op_sel:[0,0,1] op_sel_hi:[1,0,0] neg_lo:[0,0,1] neg_hi:[0,0,1]
	v_mov_b32_e32 v134, v132
	v_mov_b32_e32 v135, v131
	v_pk_fma_f32 v[136:137], v[20:21], s[22:23], v[136:137] op_sel:[0,0,1] op_sel_hi:[1,0,0] neg_lo:[0,0,1] neg_hi:[0,0,1]
	v_pk_add_f32 v[134:135], v[8:9], v[134:135]
	v_mov_b32_e32 v140, v138
	v_mov_b32_e32 v141, v137
	s_mov_b32 s26, 0x3f68dda4
	v_pk_add_f32 v[134:135], v[140:141], v[134:135]
	v_pk_mul_f32 v[140:141], v[26:27], s[26:27] op_sel_hi:[1,0]
	v_pk_mul_f32 v[154:155], v[22:23], s[28:29] op_sel_hi:[1,0]
	v_pk_fma_f32 v[142:143], v[24:25], s[2:3], v[140:141] op_sel:[0,0,1] op_sel_hi:[1,0,0]
	v_pk_fma_f32 v[140:141], v[24:25], s[2:3], v[140:141] op_sel:[0,0,1] op_sel_hi:[1,0,0] neg_lo:[0,0,1] neg_hi:[0,0,1]
	v_mov_b32_e32 v144, v142
	v_mov_b32_e32 v145, v141
	v_pk_add_f32 v[134:135], v[144:145], v[134:135]
	v_pk_mul_f32 v[144:145], v[32:33], s[18:19] op_sel_hi:[1,0]
	v_pk_fma_f32 v[156:157], v[20:21], s[6:7], v[154:155] op_sel:[0,0,1] op_sel_hi:[1,0,0]
	v_pk_fma_f32 v[146:147], v[30:31], s[4:5], v[144:145] op_sel:[0,0,1] op_sel_hi:[1,0,0]
	v_pk_fma_f32 v[144:145], v[30:31], s[4:5], v[144:145] op_sel:[0,0,1] op_sel_hi:[1,0,0] neg_lo:[0,0,1] neg_hi:[0,0,1]
	v_mov_b32_e32 v148, v146
	v_mov_b32_e32 v149, v145
	v_pk_add_f32 v[134:135], v[148:149], v[134:135]
	v_pk_mul_f32 v[148:149], v[58:59], s[20:21] op_sel_hi:[1,0]
	v_pk_fma_f32 v[154:155], v[20:21], s[6:7], v[154:155] op_sel:[0,0,1] op_sel_hi:[1,0,0] neg_lo:[0,0,1] neg_hi:[0,0,1]
	v_pk_fma_f32 v[150:151], v[56:57], s[16:17], v[148:149] op_sel:[0,0,1] op_sel_hi:[1,0,0]
	v_pk_fma_f32 v[148:149], v[56:57], s[16:17], v[148:149] op_sel:[0,0,1] op_sel_hi:[1,0,0] neg_lo:[0,0,1] neg_hi:[0,0,1]
	v_mov_b32_e32 v152, v150
	v_mov_b32_e32 v153, v149
	v_pk_add_f32 v[134:135], v[152:153], v[134:135]
	ds_write2_b64 v61, v[4:5], v[134:135] offset0:30 offset1:45
	v_pk_mul_f32 v[4:5], v[16:17], s[20:21] op_sel_hi:[1,0]
	v_mov_b32_e32 v158, v156
	v_pk_fma_f32 v[134:135], v[10:11], s[16:17], v[4:5] op_sel:[0,0,1] op_sel_hi:[1,0,0]
	v_pk_fma_f32 v[4:5], v[10:11], s[16:17], v[4:5] op_sel:[0,0,1] op_sel_hi:[1,0,0] neg_lo:[0,0,1] neg_hi:[0,0,1]
	v_mov_b32_e32 v152, v134
	v_mov_b32_e32 v153, v5
	v_pk_add_f32 v[152:153], v[8:9], v[152:153]
	v_mov_b32_e32 v159, v155
	v_pk_add_f32 v[152:153], v[158:159], v[152:153]
	v_pk_mul_f32 v[158:159], v[26:27], s[18:19] op_sel_hi:[1,0]
	v_pk_mul_f32 v[16:17], v[16:17], s[24:25] op_sel_hi:[1,0]
	v_pk_fma_f32 v[160:161], v[24:25], s[4:5], v[158:159] op_sel:[0,0,1] op_sel_hi:[1,0,0]
	v_pk_fma_f32 v[158:159], v[24:25], s[4:5], v[158:159] op_sel:[0,0,1] op_sel_hi:[1,0,0] neg_lo:[0,0,1] neg_hi:[0,0,1]
	v_mov_b32_e32 v162, v160
	v_mov_b32_e32 v163, v159
	v_pk_add_f32 v[152:153], v[162:163], v[152:153]
	v_pk_mul_f32 v[162:163], v[32:33], s[24:25] op_sel_hi:[1,0]
	v_pk_mul_f32 v[22:23], v[22:23], s[30:31] op_sel_hi:[1,0]
	v_pk_fma_f32 v[164:165], v[30:31], s[22:23], v[162:163] op_sel:[0,0,1] op_sel_hi:[1,0,0]
	v_pk_fma_f32 v[162:163], v[30:31], s[22:23], v[162:163] op_sel:[0,0,1] op_sel_hi:[1,0,0] neg_lo:[0,0,1] neg_hi:[0,0,1]
	v_mov_b32_e32 v166, v164
	v_mov_b32_e32 v167, v163
	v_pk_add_f32 v[152:153], v[166:167], v[152:153]
	v_pk_mul_f32 v[166:167], v[58:59], s[26:27] op_sel_hi:[1,0]
	v_pk_fma_f32 v[172:173], v[20:21], s[4:5], v[22:23] op_sel:[0,0,1] op_sel_hi:[1,0,0]
	v_pk_fma_f32 v[168:169], v[56:57], s[2:3], v[166:167] op_sel:[0,0,1] op_sel_hi:[1,0,0]
	v_pk_fma_f32 v[166:167], v[56:57], s[2:3], v[166:167] op_sel:[0,0,1] op_sel_hi:[1,0,0] neg_lo:[0,0,1] neg_hi:[0,0,1]
	v_mov_b32_e32 v170, v168
	v_mov_b32_e32 v171, v167
	v_pk_add_f32 v[152:153], v[170:171], v[152:153]
	v_pk_fma_f32 v[170:171], v[10:11], s[22:23], v[16:17] op_sel:[0,0,1] op_sel_hi:[1,0,0]
	v_pk_fma_f32 v[10:11], v[10:11], s[22:23], v[16:17] op_sel:[0,0,1] op_sel_hi:[1,0,0] neg_lo:[0,0,1] neg_hi:[0,0,1]
	v_mov_b32_e32 v16, v170
	v_mov_b32_e32 v17, v11
	v_pk_fma_f32 v[20:21], v[20:21], s[4:5], v[22:23] op_sel:[0,0,1] op_sel_hi:[1,0,0] neg_lo:[0,0,1] neg_hi:[0,0,1]
	v_pk_add_f32 v[16:17], v[8:9], v[16:17]
	v_mov_b32_e32 v22, v172
	v_mov_b32_e32 v23, v21
	v_pk_add_f32 v[16:17], v[22:23], v[16:17]
	v_pk_mul_f32 v[22:23], v[26:27], s[20:21] op_sel_hi:[1,0]
	v_mov_b32_e32 v11, v171
	v_pk_fma_f32 v[26:27], v[24:25], s[16:17], v[22:23] op_sel:[0,0,1] op_sel_hi:[1,0,0]
	v_pk_fma_f32 v[22:23], v[24:25], s[16:17], v[22:23] op_sel:[0,0,1] op_sel_hi:[1,0,0] neg_lo:[0,0,1] neg_hi:[0,0,1]
	v_mov_b32_e32 v24, v26
	v_mov_b32_e32 v25, v23
	v_pk_add_f32 v[16:17], v[24:25], v[16:17]
	v_pk_mul_f32 v[24:25], v[32:33], s[26:27] op_sel_hi:[1,0]
	v_mov_b32_e32 v5, v135
	v_pk_fma_f32 v[32:33], v[30:31], s[2:3], v[24:25] op_sel:[0,0,1] op_sel_hi:[1,0,0]
	v_pk_fma_f32 v[24:25], v[30:31], s[2:3], v[24:25] op_sel:[0,0,1] op_sel_hi:[1,0,0] neg_lo:[0,0,1] neg_hi:[0,0,1]
	v_mov_b32_e32 v30, v32
	v_mov_b32_e32 v31, v25
	v_pk_add_f32 v[10:11], v[8:9], v[10:11]
	v_mov_b32_e32 v21, v173
	v_pk_add_f32 v[4:5], v[8:9], v[4:5]
	;; [unrolled: 2-line block ×3, first 2 shown]
	v_pk_mul_f32 v[30:31], v[58:59], s[14:15] op_sel_hi:[1,0]
	v_pk_add_f32 v[10:11], v[20:21], v[10:11]
	v_mov_b32_e32 v23, v27
	v_pk_add_f32 v[4:5], v[154:155], v[4:5]
	v_mov_b32_e32 v159, v161
	v_pk_fma_f32 v[58:59], v[56:57], s[6:7], v[30:31] op_sel:[0,0,1] op_sel_hi:[1,0,0]
	v_pk_fma_f32 v[30:31], v[56:57], s[6:7], v[30:31] op_sel:[0,0,1] op_sel_hi:[1,0,0] neg_lo:[0,0,1] neg_hi:[0,0,1]
	v_pk_add_f32 v[10:11], v[22:23], v[10:11]
	v_mov_b32_e32 v25, v33
	v_pk_add_f32 v[4:5], v[158:159], v[4:5]
	v_mov_b32_e32 v163, v165
	v_mov_b32_e32 v57, v31
	v_pk_add_f32 v[10:11], v[24:25], v[10:11]
	v_mov_b32_e32 v31, v59
	v_pk_add_f32 v[4:5], v[162:163], v[4:5]
	;; [unrolled: 2-line block ×3, first 2 shown]
	v_pk_add_f32 v[4:5], v[166:167], v[4:5]
	v_mov_b32_e32 v131, v133
	v_mov_b32_e32 v1, v3
	ds_write2_b64 v61, v[10:11], v[4:5] offset0:90 offset1:105
	v_pk_add_f32 v[4:5], v[8:9], v[130:131]
	v_mov_b32_e32 v137, v139
	v_pk_add_f32 v[0:1], v[8:9], v[0:1]
	v_mov_b32_e32 v7, v13
	;; [unrolled: 2-line block ×8, first 2 shown]
	v_pk_add_f32 v[4:5], v[148:149], v[4:5]
	v_pk_add_f32 v[0:1], v[108:109], v[0:1]
	v_mov_b32_e32 v85, v107
	ds_write2_b64 v61, v[4:5], v[0:1] offset0:120 offset1:135
	v_pk_add_f32 v[0:1], v[8:9], v[84:85]
	v_mov_b32_e32 v113, v115
	v_pk_add_f32 v[0:1], v[112:113], v[0:1]
	v_mov_b32_e32 v117, v119
	;; [unrolled: 2-line block ×3, first 2 shown]
	v_mov_b32_e32 v56, v58
	v_pk_add_f32 v[0:1], v[120:121], v[0:1]
	v_mov_b32_e32 v125, v127
	v_pk_add_f32 v[16:17], v[56:57], v[16:17]
	v_pk_add_f32 v[0:1], v[124:125], v[0:1]
	ds_write2_b64 v61, v[152:153], v[16:17] offset0:60 offset1:75
	ds_write_b64 v61, v[0:1] offset:1200
.LBB0_17:
	s_or_b64 exec, exec, s[0:1]
	v_add_u32_e32 v30, 0x800, v60
	s_waitcnt lgkmcnt(0)
	s_barrier
	ds_read2_b64 v[0:3], v30 offset0:74 offset1:239
	v_add_u32_e32 v31, 0x1e00, v60
	ds_read2_b64 v[8:11], v31 offset0:30 offset1:195
	ds_read2_b64 v[4:7], v60 offset1:165
	v_add_u32_e32 v32, 0x1400, v60
	s_waitcnt lgkmcnt(2)
	v_pk_mul_f32 v[12:13], v[36:37], v[2:3]
	s_mov_b32 s0, 0x3f5db3d7
	v_pk_fma_f32 v[14:15], v[100:101], v[2:3], v[12:13] op_sel:[0,0,1] op_sel_hi:[1,1,0]
	v_pk_fma_f32 v[2:3], v[100:101], v[2:3], v[12:13] op_sel:[0,0,1] op_sel_hi:[1,1,0] neg_lo:[0,0,1] neg_hi:[0,0,1]
	v_mov_b32_e32 v16, s12
	v_mov_b32_e32 v15, v3
	s_waitcnt lgkmcnt(1)
	v_pk_mul_f32 v[2:3], v[38:39], v[8:9]
	v_mov_b32_e32 v17, s13
	v_pk_fma_f32 v[12:13], v[98:99], v[8:9], v[2:3] op_sel:[0,0,1] op_sel_hi:[1,1,0]
	v_pk_fma_f32 v[2:3], v[98:99], v[8:9], v[2:3] op_sel:[0,0,1] op_sel_hi:[1,1,0] neg_lo:[0,0,1] neg_hi:[0,0,1]
	s_mul_i32 s4, s9, 0xf78
	v_mov_b32_e32 v13, v3
	s_waitcnt lgkmcnt(0)
	v_pk_add_f32 v[2:3], v[4:5], v[14:15]
	s_nop 0
	v_pk_add_f32 v[8:9], v[2:3], v[12:13]
	v_pk_add_f32 v[2:3], v[14:15], v[12:13]
	v_pk_add_f32 v[12:13], v[14:15], v[12:13] neg_lo:[0,1] neg_hi:[0,1]
	v_pk_fma_f32 v[18:19], v[2:3], 0.5, v[4:5] op_sel_hi:[1,0,1] neg_lo:[1,0,0] neg_hi:[1,0,0]
	ds_read2_b64 v[2:5], v32 offset0:20 offset1:185
	v_pk_mul_f32 v[12:13], v[12:13], s[0:1] op_sel_hi:[1,0]
	s_waitcnt lgkmcnt(0)
	v_pk_mul_f32 v[20:21], v[40:41], v[4:5]
	v_pk_add_f32 v[14:15], v[18:19], v[12:13] op_sel:[0,1] op_sel_hi:[1,0] neg_lo:[0,1] neg_hi:[0,1]
	v_pk_add_f32 v[12:13], v[18:19], v[12:13] op_sel:[0,1] op_sel_hi:[1,0]
	ds_read_b64 v[18:19], v60 offset:10560
	v_pk_fma_f32 v[22:23], v[104:105], v[4:5], v[20:21] op_sel:[0,0,1] op_sel_hi:[1,1,0]
	v_pk_fma_f32 v[4:5], v[104:105], v[4:5], v[20:21] op_sel:[0,0,1] op_sel_hi:[1,1,0] neg_lo:[0,0,1] neg_hi:[0,0,1]
	s_waitcnt lgkmcnt(0)
	v_mov_b32_e32 v23, v5
	v_pk_mul_f32 v[4:5], v[42:43], v[18:19]
	s_barrier
	v_pk_fma_f32 v[20:21], v[102:103], v[18:19], v[4:5] op_sel:[0,0,1] op_sel_hi:[1,1,0]
	v_pk_fma_f32 v[4:5], v[102:103], v[18:19], v[4:5] op_sel:[0,0,1] op_sel_hi:[1,1,0] neg_lo:[0,0,1] neg_hi:[0,0,1]
	s_nop 0
	v_mov_b32_e32 v21, v5
	v_pk_add_f32 v[4:5], v[22:23], v[20:21]
	v_pk_add_f32 v[18:19], v[22:23], v[20:21] neg_lo:[0,1] neg_hi:[0,1]
	v_pk_fma_f32 v[4:5], v[4:5], 0.5, v[0:1] op_sel_hi:[1,0,1] neg_lo:[1,0,0] neg_hi:[1,0,0]
	v_pk_mul_f32 v[18:19], v[18:19], s[0:1] op_sel_hi:[1,0]
	v_pk_add_f32 v[0:1], v[0:1], v[22:23]
	v_pk_add_f32 v[24:25], v[4:5], v[18:19] op_sel:[0,1] op_sel_hi:[1,0]
	v_pk_add_f32 v[4:5], v[4:5], v[18:19] op_sel:[0,1] op_sel_hi:[1,0] neg_lo:[0,1] neg_hi:[0,1]
	v_pk_mul_f32 v[18:19], v[36:37], v[2:3]
	v_pk_add_f32 v[0:1], v[0:1], v[20:21]
	v_pk_fma_f32 v[26:27], v[100:101], v[2:3], v[18:19] op_sel:[0,0,1] op_sel_hi:[1,1,0]
	v_pk_fma_f32 v[2:3], v[100:101], v[2:3], v[18:19] op_sel:[0,0,1] op_sel_hi:[1,1,0] neg_lo:[0,0,1] neg_hi:[0,0,1]
	s_nop 0
	v_mov_b32_e32 v27, v3
	v_pk_mul_f32 v[2:3], v[38:39], v[10:11]
	s_nop 0
	v_pk_fma_f32 v[18:19], v[98:99], v[10:11], v[2:3] op_sel:[0,0,1] op_sel_hi:[1,1,0]
	v_pk_fma_f32 v[2:3], v[98:99], v[10:11], v[2:3] op_sel:[0,0,1] op_sel_hi:[1,1,0] neg_lo:[0,0,1] neg_hi:[0,0,1]
	s_nop 0
	v_mov_b32_e32 v19, v3
	v_pk_add_f32 v[2:3], v[26:27], v[18:19]
	v_pk_add_f32 v[10:11], v[26:27], v[18:19] neg_lo:[0,1] neg_hi:[0,1]
	v_pk_fma_f32 v[2:3], v[2:3], 0.5, v[6:7] op_sel_hi:[1,0,1] neg_lo:[1,0,0] neg_hi:[1,0,0]
	v_pk_mul_f32 v[10:11], v[10:11], s[0:1] op_sel_hi:[1,0]
	v_pk_add_f32 v[6:7], v[6:7], v[26:27]
	v_pk_add_f32 v[28:29], v[2:3], v[10:11] op_sel:[0,1] op_sel_hi:[1,0]
	v_pk_add_f32 v[2:3], v[2:3], v[10:11] op_sel:[0,1] op_sel_hi:[1,0] neg_lo:[0,1] neg_hi:[0,1]
	v_mov_b32_e32 v10, v14
	v_mov_b32_e32 v11, v13
	;; [unrolled: 1-line block ×3, first 2 shown]
	v_pk_add_f32 v[6:7], v[6:7], v[18:19]
	ds_write2_b64 v60, v[8:9], v[10:11] offset1:165
	ds_write2_b64 v30, v[12:13], v[6:7] offset0:74 offset1:239
	v_mov_b32_e32 v6, v2
	v_mov_b32_e32 v7, v29
	v_mov_b32_e32 v29, v3
	v_mov_b32_e32 v2, v4
	v_mov_b32_e32 v3, v25
	v_add_u32_e32 v4, 0x1e00, v110
	v_mov_b32_e32 v25, v5
	ds_write2_b64 v32, v[6:7], v[28:29] offset0:20 offset1:185
	ds_write2_b64 v4, v[0:1], v[2:3] offset0:30 offset1:195
	ds_write_b64 v110, v[24:25] offset:10560
	s_waitcnt lgkmcnt(0)
	s_barrier
	ds_read2_b64 v[0:3], v30 offset0:74 offset1:239
	ds_read2_b64 v[4:7], v60 offset1:165
	ds_read2_b64 v[8:11], v31 offset0:30 offset1:195
	v_mad_u64_u32 v[18:19], s[2:3], s10, v72, 0
	s_waitcnt lgkmcnt(2)
	v_pk_mul_f32 v[12:13], v[52:53], v[2:3]
	s_nop 0
	v_pk_fma_f32 v[20:21], v[96:97], v[2:3], v[12:13] op_sel:[0,0,1] op_sel_hi:[1,1,0]
	v_pk_fma_f32 v[2:3], v[96:97], v[2:3], v[12:13] op_sel:[0,0,1] op_sel_hi:[1,1,0] neg_lo:[0,0,1] neg_hi:[0,0,1]
	ds_read2_b64 v[12:15], v32 offset0:20 offset1:185
	v_mov_b32_e32 v21, v3
	s_waitcnt lgkmcnt(1)
	v_pk_mul_f32 v[2:3], v[54:55], v[8:9]
	s_waitcnt lgkmcnt(0)
	v_pk_mul_f32 v[26:27], v[44:45], v[14:15]
	v_pk_fma_f32 v[22:23], v[94:95], v[8:9], v[2:3] op_sel:[0,0,1] op_sel_hi:[1,1,0]
	v_pk_fma_f32 v[2:3], v[94:95], v[8:9], v[2:3] op_sel:[0,0,1] op_sel_hi:[1,1,0] neg_lo:[0,0,1] neg_hi:[0,0,1]
	v_pk_mul_f32 v[8:9], v[48:49], v[12:13]
	v_pk_fma_f32 v[28:29], v[88:89], v[14:15], v[26:27] op_sel:[0,0,1] op_sel_hi:[1,1,0]
	v_pk_fma_f32 v[24:25], v[92:93], v[12:13], v[8:9] op_sel:[0,0,1] op_sel_hi:[1,1,0]
	v_pk_fma_f32 v[8:9], v[92:93], v[12:13], v[8:9] op_sel:[0,0,1] op_sel_hi:[1,1,0] neg_lo:[0,0,1] neg_hi:[0,0,1]
	v_pk_fma_f32 v[14:15], v[88:89], v[14:15], v[26:27] op_sel:[0,0,1] op_sel_hi:[1,1,0] neg_lo:[0,0,1] neg_hi:[0,0,1]
	v_mov_b32_e32 v25, v9
	v_pk_mul_f32 v[8:9], v[50:51], v[10:11]
	v_mov_b32_e32 v23, v3
	v_pk_fma_f32 v[12:13], v[90:91], v[10:11], v[8:9] op_sel:[0,0,1] op_sel_hi:[1,1,0]
	v_pk_fma_f32 v[8:9], v[90:91], v[10:11], v[8:9] op_sel:[0,0,1] op_sel_hi:[1,1,0] neg_lo:[0,0,1] neg_hi:[0,0,1]
	ds_read_b64 v[10:11], v60 offset:10560
	v_mov_b32_e32 v29, v15
	v_pk_add_f32 v[2:3], v[4:5], v[20:21]
	v_mov_b32_e32 v13, v9
	v_pk_add_f32 v[2:3], v[2:3], v[22:23]
	s_waitcnt lgkmcnt(0)
	v_pk_mul_f32 v[14:15], v[46:47], v[10:11]
	v_pk_add_f32 v[8:9], v[6:7], v[24:25]
	v_pk_fma_f32 v[26:27], v[86:87], v[10:11], v[14:15] op_sel:[0,0,1] op_sel_hi:[1,1,0]
	v_pk_fma_f32 v[10:11], v[86:87], v[10:11], v[14:15] op_sel:[0,0,1] op_sel_hi:[1,1,0] neg_lo:[0,0,1] neg_hi:[0,0,1]
	v_pk_add_f32 v[14:15], v[20:21], v[22:23]
	v_pk_add_f32 v[8:9], v[8:9], v[12:13]
	v_pk_fma_f32 v[4:5], v[14:15], 0.5, v[4:5] op_sel_hi:[1,0,1] neg_lo:[1,0,0] neg_hi:[1,0,0]
	v_pk_add_f32 v[14:15], v[20:21], v[22:23] neg_lo:[0,1] neg_hi:[0,1]
	v_mov_b32_e32 v27, v11
	v_pk_mul_f32 v[14:15], v[14:15], s[0:1] op_sel_hi:[1,0]
	v_pk_add_f32 v[10:11], v[0:1], v[28:29]
	v_pk_add_f32 v[20:21], v[4:5], v[14:15] op_sel:[0,1] op_sel_hi:[1,0] neg_lo:[0,1] neg_hi:[0,1]
	v_pk_add_f32 v[4:5], v[4:5], v[14:15] op_sel:[0,1] op_sel_hi:[1,0]
	v_mov_b32_e32 v14, v20
	v_mov_b32_e32 v15, v5
	;; [unrolled: 1-line block ×3, first 2 shown]
	ds_write_b64 v60, v[14:15] offset:3960
	ds_write_b64 v60, v[4:5] offset:7920
	ds_write2_b64 v60, v[2:3], v[8:9] offset1:165
	v_pk_add_f32 v[2:3], v[24:25], v[12:13]
	v_pk_add_f32 v[4:5], v[24:25], v[12:13] neg_lo:[0,1] neg_hi:[0,1]
	v_pk_fma_f32 v[2:3], v[2:3], 0.5, v[6:7] op_sel_hi:[1,0,1] neg_lo:[1,0,0] neg_hi:[1,0,0]
	v_pk_mul_f32 v[4:5], v[4:5], s[0:1] op_sel_hi:[1,0]
	v_pk_add_f32 v[10:11], v[10:11], v[26:27]
	v_pk_add_f32 v[6:7], v[2:3], v[4:5] op_sel:[0,1] op_sel_hi:[1,0] neg_lo:[0,1] neg_hi:[0,1]
	v_pk_add_f32 v[2:3], v[2:3], v[4:5] op_sel:[0,1] op_sel_hi:[1,0]
	v_mov_b32_e32 v4, v6
	v_mov_b32_e32 v5, v3
	;; [unrolled: 1-line block ×3, first 2 shown]
	v_pk_add_f32 v[6:7], v[28:29], v[26:27]
	ds_write_b64 v60, v[10:11] offset:2640
	v_pk_fma_f32 v[0:1], v[6:7], 0.5, v[0:1] op_sel_hi:[1,0,1] neg_lo:[1,0,0] neg_hi:[1,0,0]
	v_pk_add_f32 v[6:7], v[28:29], v[26:27] neg_lo:[0,1] neg_hi:[0,1]
	v_mov_b32_e32 v12, 0xf78
	v_pk_mul_f32 v[6:7], v[6:7], s[0:1] op_sel_hi:[1,0]
	v_mov_b32_e32 v13, 0xffffe638
	v_pk_add_f32 v[8:9], v[0:1], v[6:7] op_sel:[0,1] op_sel_hi:[1,0] neg_lo:[0,1] neg_hi:[0,1]
	v_pk_add_f32 v[0:1], v[0:1], v[6:7] op_sel:[0,1] op_sel_hi:[1,0]
	v_mov_b32_e32 v6, v8
	v_mov_b32_e32 v7, v1
	ds_write2_b64 v32, v[4:5], v[6:7] offset0:20 offset1:185
	v_mov_b32_e32 v1, v9
	v_add_u32_e32 v4, 0x2400, v60
	ds_write2_b64 v4, v[2:3], v[0:1] offset0:3 offset1:168
	s_waitcnt lgkmcnt(0)
	s_barrier
	ds_read2_b64 v[0:3], v60 offset1:165
	v_mov_b32_e32 v4, v19
	v_mad_u64_u32 v[4:5], s[0:1], s11, v72, v[4:5]
	v_mov_b32_e32 v19, v4
	s_waitcnt lgkmcnt(0)
	v_mul_f32_e32 v4, v83, v1
	v_fmac_f32_e32 v4, v82, v0
	v_mul_f32_e32 v0, v83, v0
	s_mov_b32 s0, 0xef473283
	v_fma_f32 v0, v82, v1, -v0
	s_mov_b32 s1, 0x3f4610e4
	v_cvt_f64_f32_e32 v[0:1], v0
	v_cvt_f64_f32_e32 v[4:5], v4
	v_mul_f64 v[0:1], v[0:1], s[0:1]
	v_mul_f64 v[4:5], v[4:5], s[0:1]
	v_cvt_f32_f64_e32 v9, v[0:1]
	v_mad_u64_u32 v[0:1], s[2:3], s8, v62, 0
	v_cvt_f32_f64_e32 v8, v[4:5]
	v_mov_b32_e32 v4, v1
	v_mad_u64_u32 v[10:11], s[2:3], s9, v62, v[4:5]
	ds_read2_b64 v[4:7], v30 offset0:74 offset1:239
	v_mov_b32_e32 v1, v10
	v_lshl_add_u64 v[10:11], v[18:19], 3, v[16:17]
	v_lshl_add_u64 v[0:1], v[0:1], 3, v[10:11]
	global_store_dwordx2 v[0:1], v[8:9], off
	s_waitcnt lgkmcnt(0)
	v_mul_f32_e32 v8, v81, v7
	v_fmac_f32_e32 v8, v80, v6
	v_mul_f32_e32 v6, v81, v6
	v_fma_f32 v6, v80, v7, -v6
	v_cvt_f64_f32_e32 v[8:9], v8
	v_cvt_f64_f32_e32 v[6:7], v6
	v_mul_f64 v[8:9], v[8:9], s[0:1]
	v_mul_f64 v[6:7], v[6:7], s[0:1]
	v_cvt_f32_f64_e32 v10, v[8:9]
	v_cvt_f32_f64_e32 v11, v[6:7]
	ds_read2_b64 v[6:9], v31 offset0:30 offset1:195
	v_mad_u64_u32 v[0:1], s[2:3], s8, v12, v[0:1]
	v_add_u32_e32 v1, s4, v1
	global_store_dwordx2 v[0:1], v[10:11], off
	s_waitcnt lgkmcnt(0)
	v_mul_f32_e32 v10, v77, v7
	v_fmac_f32_e32 v10, v76, v6
	v_mul_f32_e32 v6, v77, v6
	v_fma_f32 v6, v76, v7, -v6
	v_cvt_f64_f32_e32 v[10:11], v10
	v_cvt_f64_f32_e32 v[6:7], v6
	v_mul_f64 v[10:11], v[10:11], s[0:1]
	v_mul_f64 v[6:7], v[6:7], s[0:1]
	v_cvt_f32_f64_e32 v10, v[10:11]
	v_cvt_f32_f64_e32 v11, v[6:7]
	v_mul_f32_e32 v6, v79, v3
	v_fmac_f32_e32 v6, v78, v2
	v_mul_f32_e32 v2, v79, v2
	v_fma_f32 v2, v78, v3, -v2
	v_mad_u64_u32 v[0:1], s[2:3], s8, v12, v[0:1]
	v_cvt_f64_f32_e32 v[6:7], v6
	v_cvt_f64_f32_e32 v[2:3], v2
	v_add_u32_e32 v1, s4, v1
	v_mul_f64 v[6:7], v[6:7], s[0:1]
	v_mul_f64 v[2:3], v[2:3], s[0:1]
	global_store_dwordx2 v[0:1], v[10:11], off
	v_cvt_f32_f64_e32 v6, v[6:7]
	v_cvt_f32_f64_e32 v7, v[2:3]
	v_mad_u64_u32 v[10:11], s[2:3], s8, v13, v[0:1]
	ds_read2_b64 v[0:3], v32 offset0:20 offset1:185
	s_mul_i32 s2, s9, 0xffffe638
	s_sub_i32 s5, s2, s8
	v_add_u32_e32 v11, s5, v11
	global_store_dwordx2 v[10:11], v[6:7], off
	s_waitcnt lgkmcnt(0)
	v_mul_f32_e32 v6, v71, v1
	v_fmac_f32_e32 v6, v70, v0
	v_mul_f32_e32 v0, v71, v0
	v_fma_f32 v0, v70, v1, -v0
	v_cvt_f64_f32_e32 v[6:7], v6
	v_cvt_f64_f32_e32 v[0:1], v0
	v_mul_f64 v[6:7], v[6:7], s[0:1]
	v_mul_f64 v[0:1], v[0:1], s[0:1]
	v_cvt_f32_f64_e32 v6, v[6:7]
	v_cvt_f32_f64_e32 v7, v[0:1]
	v_mad_u64_u32 v[0:1], s[2:3], s8, v12, v[10:11]
	v_add_u32_e32 v1, s4, v1
	global_store_dwordx2 v[0:1], v[6:7], off
	v_mul_f32_e32 v6, v75, v9
	v_fmac_f32_e32 v6, v74, v8
	v_cvt_f64_f32_e32 v[6:7], v6
	v_mul_f64 v[6:7], v[6:7], s[0:1]
	v_cvt_f32_f64_e32 v6, v[6:7]
	v_mul_f32_e32 v7, v75, v8
	v_fma_f32 v7, v74, v9, -v7
	v_cvt_f64_f32_e32 v[8:9], v7
	v_mul_f64 v[8:9], v[8:9], s[0:1]
	v_mad_u64_u32 v[0:1], s[2:3], s8, v12, v[0:1]
	v_cvt_f32_f64_e32 v7, v[8:9]
	v_add_u32_e32 v1, s4, v1
	global_store_dwordx2 v[0:1], v[6:7], off
	v_mul_f32_e32 v6, v69, v5
	v_fmac_f32_e32 v6, v68, v4
	v_mul_f32_e32 v4, v69, v4
	v_fma_f32 v4, v68, v5, -v4
	v_cvt_f64_f32_e32 v[6:7], v6
	v_cvt_f64_f32_e32 v[4:5], v4
	v_mul_f64 v[6:7], v[6:7], s[0:1]
	v_mul_f64 v[4:5], v[4:5], s[0:1]
	v_cvt_f32_f64_e32 v6, v[6:7]
	v_cvt_f32_f64_e32 v7, v[4:5]
	v_mul_f32_e32 v4, v67, v3
	v_fmac_f32_e32 v4, v66, v2
	v_mul_f32_e32 v2, v67, v2
	v_fma_f32 v2, v66, v3, -v2
	v_cvt_f64_f32_e32 v[4:5], v4
	v_cvt_f64_f32_e32 v[2:3], v2
	v_mul_f64 v[4:5], v[4:5], s[0:1]
	v_mul_f64 v[2:3], v[2:3], s[0:1]
	v_cvt_f32_f64_e32 v4, v[4:5]
	v_cvt_f32_f64_e32 v5, v[2:3]
	ds_read_b64 v[2:3], v60 offset:10560
	v_mad_u64_u32 v[0:1], s[2:3], s8, v13, v[0:1]
	v_add_u32_e32 v1, s5, v1
	global_store_dwordx2 v[0:1], v[6:7], off
	v_mad_u64_u32 v[0:1], s[2:3], s8, v12, v[0:1]
	v_add_u32_e32 v1, s4, v1
	global_store_dwordx2 v[0:1], v[4:5], off
	s_waitcnt lgkmcnt(0)
	v_mul_f32_e32 v4, v65, v3
	v_fmac_f32_e32 v4, v64, v2
	v_mul_f32_e32 v2, v65, v2
	v_fma_f32 v2, v64, v3, -v2
	v_cvt_f64_f32_e32 v[4:5], v4
	v_cvt_f64_f32_e32 v[2:3], v2
	v_mul_f64 v[4:5], v[4:5], s[0:1]
	v_mul_f64 v[2:3], v[2:3], s[0:1]
	v_mad_u64_u32 v[0:1], s[0:1], s8, v12, v[0:1]
	v_cvt_f32_f64_e32 v4, v[4:5]
	v_cvt_f32_f64_e32 v5, v[2:3]
	v_add_u32_e32 v1, s4, v1
	global_store_dwordx2 v[0:1], v[4:5], off
.LBB0_18:
	s_endpgm
	.section	.rodata,"a",@progbits
	.p2align	6, 0x0
	.amdhsa_kernel bluestein_single_back_len1485_dim1_sp_op_CI_CI
		.amdhsa_group_segment_fixed_size 11880
		.amdhsa_private_segment_fixed_size 0
		.amdhsa_kernarg_size 104
		.amdhsa_user_sgpr_count 2
		.amdhsa_user_sgpr_dispatch_ptr 0
		.amdhsa_user_sgpr_queue_ptr 0
		.amdhsa_user_sgpr_kernarg_segment_ptr 1
		.amdhsa_user_sgpr_dispatch_id 0
		.amdhsa_user_sgpr_kernarg_preload_length 0
		.amdhsa_user_sgpr_kernarg_preload_offset 0
		.amdhsa_user_sgpr_private_segment_size 0
		.amdhsa_uses_dynamic_stack 0
		.amdhsa_enable_private_segment 0
		.amdhsa_system_sgpr_workgroup_id_x 1
		.amdhsa_system_sgpr_workgroup_id_y 0
		.amdhsa_system_sgpr_workgroup_id_z 0
		.amdhsa_system_sgpr_workgroup_info 0
		.amdhsa_system_vgpr_workitem_id 0
		.amdhsa_next_free_vgpr 174
		.amdhsa_next_free_sgpr 42
		.amdhsa_accum_offset 176
		.amdhsa_reserve_vcc 1
		.amdhsa_float_round_mode_32 0
		.amdhsa_float_round_mode_16_64 0
		.amdhsa_float_denorm_mode_32 3
		.amdhsa_float_denorm_mode_16_64 3
		.amdhsa_dx10_clamp 1
		.amdhsa_ieee_mode 1
		.amdhsa_fp16_overflow 0
		.amdhsa_tg_split 0
		.amdhsa_exception_fp_ieee_invalid_op 0
		.amdhsa_exception_fp_denorm_src 0
		.amdhsa_exception_fp_ieee_div_zero 0
		.amdhsa_exception_fp_ieee_overflow 0
		.amdhsa_exception_fp_ieee_underflow 0
		.amdhsa_exception_fp_ieee_inexact 0
		.amdhsa_exception_int_div_zero 0
	.end_amdhsa_kernel
	.text
.Lfunc_end0:
	.size	bluestein_single_back_len1485_dim1_sp_op_CI_CI, .Lfunc_end0-bluestein_single_back_len1485_dim1_sp_op_CI_CI
                                        ; -- End function
	.section	.AMDGPU.csdata,"",@progbits
; Kernel info:
; codeLenInByte = 11680
; NumSgprs: 48
; NumVgprs: 174
; NumAgprs: 0
; TotalNumVgprs: 174
; ScratchSize: 0
; MemoryBound: 0
; FloatMode: 240
; IeeeMode: 1
; LDSByteSize: 11880 bytes/workgroup (compile time only)
; SGPRBlocks: 5
; VGPRBlocks: 21
; NumSGPRsForWavesPerEU: 48
; NumVGPRsForWavesPerEU: 174
; AccumOffset: 176
; Occupancy: 2
; WaveLimiterHint : 1
; COMPUTE_PGM_RSRC2:SCRATCH_EN: 0
; COMPUTE_PGM_RSRC2:USER_SGPR: 2
; COMPUTE_PGM_RSRC2:TRAP_HANDLER: 0
; COMPUTE_PGM_RSRC2:TGID_X_EN: 1
; COMPUTE_PGM_RSRC2:TGID_Y_EN: 0
; COMPUTE_PGM_RSRC2:TGID_Z_EN: 0
; COMPUTE_PGM_RSRC2:TIDIG_COMP_CNT: 0
; COMPUTE_PGM_RSRC3_GFX90A:ACCUM_OFFSET: 43
; COMPUTE_PGM_RSRC3_GFX90A:TG_SPLIT: 0
	.text
	.p2alignl 6, 3212836864
	.fill 256, 4, 3212836864
	.type	__hip_cuid_9b5653f63bc7ab26,@object ; @__hip_cuid_9b5653f63bc7ab26
	.section	.bss,"aw",@nobits
	.globl	__hip_cuid_9b5653f63bc7ab26
__hip_cuid_9b5653f63bc7ab26:
	.byte	0                               ; 0x0
	.size	__hip_cuid_9b5653f63bc7ab26, 1

	.ident	"AMD clang version 19.0.0git (https://github.com/RadeonOpenCompute/llvm-project roc-6.4.0 25133 c7fe45cf4b819c5991fe208aaa96edf142730f1d)"
	.section	".note.GNU-stack","",@progbits
	.addrsig
	.addrsig_sym __hip_cuid_9b5653f63bc7ab26
	.amdgpu_metadata
---
amdhsa.kernels:
  - .agpr_count:     0
    .args:
      - .actual_access:  read_only
        .address_space:  global
        .offset:         0
        .size:           8
        .value_kind:     global_buffer
      - .actual_access:  read_only
        .address_space:  global
        .offset:         8
        .size:           8
        .value_kind:     global_buffer
      - .actual_access:  read_only
        .address_space:  global
        .offset:         16
        .size:           8
        .value_kind:     global_buffer
      - .actual_access:  read_only
        .address_space:  global
        .offset:         24
        .size:           8
        .value_kind:     global_buffer
      - .actual_access:  read_only
        .address_space:  global
        .offset:         32
        .size:           8
        .value_kind:     global_buffer
      - .offset:         40
        .size:           8
        .value_kind:     by_value
      - .address_space:  global
        .offset:         48
        .size:           8
        .value_kind:     global_buffer
      - .address_space:  global
        .offset:         56
        .size:           8
        .value_kind:     global_buffer
      - .address_space:  global
        .offset:         64
        .size:           8
        .value_kind:     global_buffer
      - .address_space:  global
        .offset:         72
        .size:           8
        .value_kind:     global_buffer
      - .offset:         80
        .size:           4
        .value_kind:     by_value
      - .address_space:  global
        .offset:         88
        .size:           8
        .value_kind:     global_buffer
      - .address_space:  global
        .offset:         96
        .size:           8
        .value_kind:     global_buffer
    .group_segment_fixed_size: 11880
    .kernarg_segment_align: 8
    .kernarg_segment_size: 104
    .language:       OpenCL C
    .language_version:
      - 2
      - 0
    .max_flat_workgroup_size: 165
    .name:           bluestein_single_back_len1485_dim1_sp_op_CI_CI
    .private_segment_fixed_size: 0
    .sgpr_count:     48
    .sgpr_spill_count: 0
    .symbol:         bluestein_single_back_len1485_dim1_sp_op_CI_CI.kd
    .uniform_work_group_size: 1
    .uses_dynamic_stack: false
    .vgpr_count:     174
    .vgpr_spill_count: 0
    .wavefront_size: 64
amdhsa.target:   amdgcn-amd-amdhsa--gfx950
amdhsa.version:
  - 1
  - 2
...

	.end_amdgpu_metadata
